;; amdgpu-corpus repo=ROCm/rocFFT kind=compiled arch=gfx906 opt=O3
	.text
	.amdgcn_target "amdgcn-amd-amdhsa--gfx906"
	.amdhsa_code_object_version 6
	.protected	bluestein_single_fwd_len170_dim1_dp_op_CI_CI ; -- Begin function bluestein_single_fwd_len170_dim1_dp_op_CI_CI
	.globl	bluestein_single_fwd_len170_dim1_dp_op_CI_CI
	.p2align	8
	.type	bluestein_single_fwd_len170_dim1_dp_op_CI_CI,@function
bluestein_single_fwd_len170_dim1_dp_op_CI_CI: ; @bluestein_single_fwd_len170_dim1_dp_op_CI_CI
; %bb.0:
	s_mov_b64 s[66:67], s[2:3]
	v_mul_u32_u24_e32 v1, 0xf10, v0
	s_mov_b64 s[64:65], s[0:1]
	s_load_dwordx4 s[0:3], s[4:5], 0x28
	v_lshrrev_b32_e32 v1, 16, v1
	s_add_u32 s64, s64, s7
	v_mad_u64_u32 v[140:141], s[6:7], s6, 7, v[1:2]
	v_mov_b32_e32 v141, 0
	s_addc_u32 s65, s65, 0
	s_waitcnt lgkmcnt(0)
	v_cmp_gt_u64_e32 vcc, s[0:1], v[140:141]
	s_and_saveexec_b64 s[0:1], vcc
	s_cbranch_execz .LBB0_15
; %bb.1:
	s_mov_b32 s0, 0x24924925
	v_mul_hi_u32 v2, v140, s0
	s_load_dwordx2 s[6:7], s[4:5], 0x0
	s_load_dwordx2 s[12:13], s[4:5], 0x38
	v_mul_lo_u16_e32 v1, 17, v1
	v_sub_u16_e32 v163, v0, v1
	v_sub_u32_e32 v3, v140, v2
	v_lshrrev_b32_e32 v3, 1, v3
	v_add_u32_e32 v2, v3, v2
	v_lshrrev_b32_e32 v2, 2, v2
	v_mul_lo_u32 v2, v2, 7
	v_cmp_gt_u16_e32 vcc, 10, v163
	v_lshlrev_b32_e32 v255, 4, v163
	v_sub_u32_e32 v0, v140, v2
	v_mul_u32_u24_e32 v0, 0xaa, v0
	v_lshlrev_b32_e32 v164, 4, v0
	buffer_store_dword v0, off, s[64:67], 0 ; 4-byte Folded Spill
	s_and_saveexec_b64 s[14:15], vcc
	s_cbranch_execz .LBB0_3
; %bb.2:
	s_load_dwordx2 s[0:1], s[4:5], 0x18
	v_or_b32_e32 v62, 0x50, v163
	v_mov_b32_e32 v70, 0x140
	v_or_b32_e32 v121, 0xa0, v163
	s_waitcnt lgkmcnt(0)
	s_load_dwordx4 s[8:11], s[0:1], 0x0
	s_waitcnt lgkmcnt(0)
	v_mad_u64_u32 v[0:1], s[0:1], s10, v140, 0
	v_mad_u64_u32 v[2:3], s[0:1], s8, v163, 0
	;; [unrolled: 1-line block ×4, first 2 shown]
	v_mov_b32_e32 v1, v4
	v_lshlrev_b64 v[0:1], 4, v[0:1]
	v_mov_b32_e32 v3, v5
	v_mov_b32_e32 v6, s3
	v_lshlrev_b64 v[2:3], 4, v[2:3]
	v_add_co_u32_e64 v16, s[0:1], s2, v0
	v_addc_co_u32_e64 v17, s[0:1], v6, v1, s[0:1]
	v_add_co_u32_e64 v18, s[0:1], v16, v2
	v_addc_co_u32_e64 v19, s[0:1], v17, v3, s[0:1]
	s_mul_i32 s0, s9, 0xa0
	s_mul_hi_u32 s3, s8, 0xa0
	s_add_i32 s3, s3, s0
	s_mul_i32 s2, s8, 0xa0
	v_mov_b32_e32 v0, s3
	v_add_co_u32_e64 v20, s[0:1], s2, v18
	v_addc_co_u32_e64 v21, s[0:1], v19, v0, s[0:1]
	global_load_dwordx4 v[0:3], v[18:19], off
	global_load_dwordx4 v[4:7], v[20:21], off
	global_load_dwordx4 v[8:11], v255, s[6:7]
	global_load_dwordx4 v[12:15], v255, s[6:7] offset:160
	v_mov_b32_e32 v18, s3
	v_add_co_u32_e64 v34, s[0:1], s2, v20
	v_addc_co_u32_e64 v35, s[0:1], v21, v18, s[0:1]
	v_add_co_u32_e64 v36, s[0:1], s2, v34
	v_addc_co_u32_e64 v37, s[0:1], v35, v18, s[0:1]
	global_load_dwordx4 v[18:21], v[34:35], off
	global_load_dwordx4 v[22:25], v[36:37], off
	global_load_dwordx4 v[26:29], v255, s[6:7] offset:320
	global_load_dwordx4 v[30:33], v255, s[6:7] offset:480
	v_mov_b32_e32 v34, s3
	v_add_co_u32_e64 v38, s[0:1], s2, v36
	v_addc_co_u32_e64 v39, s[0:1], v37, v34, s[0:1]
	v_mov_b32_e32 v40, s3
	v_add_co_u32_e64 v58, s[0:1], s2, v38
	v_addc_co_u32_e64 v59, s[0:1], v39, v40, s[0:1]
	v_mad_u64_u32 v[60:61], s[0:1], s8, v62, 0
	v_mov_b32_e32 v63, s3
	v_mov_b32_e32 v64, s3
	v_mad_u64_u32 v[61:62], s[0:1], s9, v62, v[61:62]
	v_add_co_u32_e64 v62, s[0:1], s2, v58
	v_addc_co_u32_e64 v63, s[0:1], v59, v63, s[0:1]
	v_add_co_u32_e64 v68, s[0:1], s2, v62
	v_lshlrev_b64 v[66:67], 4, v[60:61]
	v_addc_co_u32_e64 v69, s[0:1], v63, v64, s[0:1]
	v_mad_u64_u32 v[82:83], s[0:1], s8, v70, v[68:69]
	v_add_co_u32_e64 v66, s[0:1], v16, v66
	global_load_dwordx4 v[34:37], v[38:39], off
	v_addc_co_u32_e64 v67, s[0:1], v17, v67, s[0:1]
	global_load_dwordx4 v[38:41], v255, s[6:7] offset:640
	global_load_dwordx4 v[42:45], v255, s[6:7] offset:800
	s_mul_i32 s0, s9, 0x140
	v_add_u32_e32 v83, s0, v83
	v_mov_b32_e32 v84, s3
	v_add_co_u32_e64 v86, s[0:1], s2, v82
	v_addc_co_u32_e64 v87, s[0:1], v83, v84, s[0:1]
	v_mov_b32_e32 v88, s3
	v_add_co_u32_e64 v98, s[0:1], s2, v86
	v_addc_co_u32_e64 v99, s[0:1], v87, v88, s[0:1]
	global_load_dwordx4 v[46:49], v[58:59], off
	global_load_dwordx4 v[50:53], v255, s[6:7] offset:960
	global_load_dwordx4 v[54:57], v255, s[6:7] offset:1120
	v_mov_b32_e32 v100, s3
	global_load_dwordx4 v[58:61], v[62:63], off
	v_add_co_u32_e64 v102, s[0:1], s2, v98
	global_load_dwordx4 v[62:65], v[68:69], off
	v_addc_co_u32_e64 v103, s[0:1], v99, v100, s[0:1]
	global_load_dwordx4 v[66:69], v[66:67], off
	v_mov_b32_e32 v104, s3
	v_add_co_u32_e64 v114, s[0:1], s2, v102
	global_load_dwordx4 v[70:73], v[82:83], off
	global_load_dwordx4 v[74:77], v255, s[6:7] offset:1280
	global_load_dwordx4 v[78:81], v255, s[6:7] offset:1440
	v_addc_co_u32_e64 v115, s[0:1], v103, v104, s[0:1]
	v_mov_b32_e32 v116, s3
	v_add_co_u32_e64 v118, s[0:1], s2, v114
	v_addc_co_u32_e64 v119, s[0:1], v115, v116, s[0:1]
	v_mad_u64_u32 v[130:131], s[0:1], s8, v121, 0
	global_load_dwordx4 v[82:85], v[86:87], off
	s_nop 0
	global_load_dwordx4 v[86:89], v[98:99], off
	global_load_dwordx4 v[90:93], v255, s[6:7] offset:1600
	global_load_dwordx4 v[94:97], v255, s[6:7] offset:1760
	v_mov_b32_e32 v120, s3
	global_load_dwordx4 v[98:101], v[102:103], off
	s_nop 0
	global_load_dwordx4 v[102:105], v[114:115], off
	global_load_dwordx4 v[106:109], v255, s[6:7] offset:1920
	global_load_dwordx4 v[110:113], v255, s[6:7] offset:2080
	s_waitcnt vmcnt(24)
	v_mul_f64 v[138:139], v[6:7], v[14:15]
	global_load_dwordx4 v[114:117], v[118:119], off
	v_add_co_u32_e64 v118, s[0:1], s2, v118
	v_addc_co_u32_e64 v119, s[0:1], v119, v120, s[0:1]
	v_mov_b32_e32 v120, v131
	v_mad_u64_u32 v[131:132], s[0:1], s9, v121, v[120:121]
	global_load_dwordx4 v[118:121], v[118:119], off
	s_nop 0
	global_load_dwordx4 v[122:125], v255, s[6:7] offset:2240
	global_load_dwordx4 v[126:129], v255, s[6:7] offset:2400
	s_waitcnt vmcnt(25)
	v_mul_f64 v[141:142], v[20:21], v[28:29]
	v_lshlrev_b64 v[130:131], 4, v[130:131]
	v_mul_f64 v[28:29], v[18:19], v[28:29]
	v_add_co_u32_e64 v16, s[0:1], v16, v130
	v_addc_co_u32_e64 v17, s[0:1], v17, v131, s[0:1]
	global_load_dwordx4 v[130:133], v[16:17], off
	global_load_dwordx4 v[134:137], v255, s[6:7] offset:2560
	v_mul_f64 v[16:17], v[2:3], v[10:11]
	v_mul_f64 v[10:11], v[0:1], v[10:11]
	;; [unrolled: 1-line block ×3, first 2 shown]
	s_waitcnt vmcnt(26)
	v_mul_f64 v[143:144], v[24:25], v[32:33]
	v_mul_f64 v[32:33], v[22:23], v[32:33]
	v_fma_f64 v[4:5], v[4:5], v[12:13], v[138:139]
	v_fma_f64 v[0:1], v[0:1], v[8:9], v[16:17]
	v_fma_f64 v[2:3], v[2:3], v[8:9], -v[10:11]
	v_fma_f64 v[8:9], v[18:19], v[26:27], v[141:142]
	v_fma_f64 v[10:11], v[20:21], v[26:27], -v[28:29]
	v_fma_f64 v[6:7], v[6:7], v[12:13], -v[14:15]
	v_fma_f64 v[12:13], v[22:23], v[30:31], v[143:144]
	v_fma_f64 v[14:15], v[24:25], v[30:31], -v[32:33]
	s_waitcnt vmcnt(24)
	v_mul_f64 v[145:146], v[36:37], v[40:41]
	v_mul_f64 v[40:41], v[34:35], v[40:41]
	v_fma_f64 v[16:17], v[34:35], v[38:39], v[145:146]
	v_fma_f64 v[18:19], v[36:37], v[38:39], -v[40:41]
	v_add_u32_e32 v38, v164, v255
	s_waitcnt vmcnt(22)
	v_mul_f64 v[147:148], v[48:49], v[44:45]
	v_mul_f64 v[44:45], v[46:47], v[44:45]
	s_waitcnt vmcnt(19)
	v_mul_f64 v[26:27], v[60:61], v[52:53]
	v_mul_f64 v[28:29], v[58:59], v[52:53]
	;; [unrolled: 3-line block ×3, first 2 shown]
	v_fma_f64 v[20:21], v[46:47], v[42:43], v[147:148]
	v_fma_f64 v[22:23], v[48:49], v[42:43], -v[44:45]
	v_fma_f64 v[24:25], v[58:59], v[50:51], v[26:27]
	s_waitcnt vmcnt(15)
	v_mul_f64 v[34:35], v[68:69], v[76:77]
	v_mul_f64 v[36:37], v[66:67], v[76:77]
	v_fma_f64 v[26:27], v[60:61], v[50:51], -v[28:29]
	v_lshl_add_u32 v28, v163, 4, v164
	ds_write_b128 v28, v[0:3]
	v_fma_f64 v[0:1], v[62:63], v[54:55], v[30:31]
	v_fma_f64 v[2:3], v[64:65], v[54:55], -v[32:33]
	v_fma_f64 v[28:29], v[66:67], v[74:75], v[34:35]
	v_fma_f64 v[30:31], v[68:69], v[74:75], -v[36:37]
	ds_write_b128 v38, v[4:7] offset:160
	ds_write_b128 v38, v[8:11] offset:320
	;; [unrolled: 1-line block ×8, first 2 shown]
	s_waitcnt vmcnt(14)
	v_mul_f64 v[0:1], v[72:73], v[80:81]
	v_mul_f64 v[2:3], v[70:71], v[80:81]
	s_waitcnt vmcnt(11)
	v_mul_f64 v[4:5], v[84:85], v[92:93]
	v_mul_f64 v[6:7], v[82:83], v[92:93]
	;; [unrolled: 3-line block ×5, first 2 shown]
	v_fma_f64 v[0:1], v[70:71], v[78:79], v[0:1]
	v_fma_f64 v[2:3], v[72:73], v[78:79], -v[2:3]
	v_fma_f64 v[4:5], v[82:83], v[90:91], v[4:5]
	s_waitcnt vmcnt(3)
	v_mul_f64 v[20:21], v[116:117], v[124:125]
	v_mul_f64 v[22:23], v[114:115], v[124:125]
	s_waitcnt vmcnt(2)
	v_mul_f64 v[24:25], v[120:121], v[128:129]
	v_mul_f64 v[26:27], v[118:119], v[128:129]
	v_fma_f64 v[6:7], v[84:85], v[90:91], -v[6:7]
	v_fma_f64 v[8:9], v[86:87], v[94:95], v[8:9]
	v_fma_f64 v[10:11], v[88:89], v[94:95], -v[10:11]
	v_fma_f64 v[12:13], v[98:99], v[106:107], v[12:13]
	v_fma_f64 v[14:15], v[100:101], v[106:107], -v[14:15]
	s_waitcnt vmcnt(0)
	v_mul_f64 v[28:29], v[132:133], v[136:137]
	v_mul_f64 v[30:31], v[130:131], v[136:137]
	v_fma_f64 v[16:17], v[102:103], v[110:111], v[16:17]
	v_fma_f64 v[18:19], v[104:105], v[110:111], -v[18:19]
	v_fma_f64 v[20:21], v[114:115], v[122:123], v[20:21]
	v_fma_f64 v[22:23], v[116:117], v[122:123], -v[22:23]
	;; [unrolled: 2-line block ×4, first 2 shown]
	ds_write_b128 v38, v[0:3] offset:1440
	ds_write_b128 v38, v[4:7] offset:1600
	;; [unrolled: 1-line block ×8, first 2 shown]
.LBB0_3:
	s_or_b64 exec, exec, s[14:15]
	s_load_dwordx2 s[0:1], s[4:5], 0x20
	s_load_dwordx2 s[8:9], s[4:5], 0x8
	s_waitcnt vmcnt(0) lgkmcnt(0)
	s_barrier
	s_waitcnt lgkmcnt(0)
                                        ; implicit-def: $vgpr28_vgpr29
                                        ; implicit-def: $vgpr84_vgpr85
                                        ; implicit-def: $vgpr88_vgpr89
                                        ; implicit-def: $vgpr92_vgpr93
                                        ; implicit-def: $vgpr80_vgpr81
                                        ; implicit-def: $vgpr76_vgpr77
                                        ; implicit-def: $vgpr40_vgpr41
                                        ; implicit-def: $vgpr32_vgpr33
                                        ; implicit-def: $vgpr36_vgpr37
                                        ; implicit-def: $vgpr44_vgpr45
                                        ; implicit-def: $vgpr48_vgpr49
                                        ; implicit-def: $vgpr52_vgpr53
                                        ; implicit-def: $vgpr56_vgpr57
                                        ; implicit-def: $vgpr60_vgpr61
                                        ; implicit-def: $vgpr64_vgpr65
                                        ; implicit-def: $vgpr68_vgpr69
                                        ; implicit-def: $vgpr72_vgpr73
	s_and_saveexec_b64 s[2:3], vcc
	s_cbranch_execz .LBB0_5
; %bb.4:
	buffer_load_dword v0, off, s[64:67], 0  ; 4-byte Folded Reload
	s_waitcnt vmcnt(0)
	v_lshl_add_u32 v0, v0, 4, v255
	ds_read_b128 v[28:31], v0
	ds_read_b128 v[84:87], v0 offset:160
	ds_read_b128 v[88:91], v0 offset:320
	;; [unrolled: 1-line block ×16, first 2 shown]
.LBB0_5:
	s_or_b64 exec, exec, s[2:3]
	s_waitcnt lgkmcnt(0)
	v_add_f64 v[143:144], v[86:87], -v[74:75]
	v_add_f64 v[134:135], v[84:85], -v[72:73]
	s_mov_b32 s16, 0x5d8e7cdc
	s_mov_b32 s17, 0xbfd71e95
	v_add_f64 v[173:174], v[90:91], -v[70:71]
	v_add_f64 v[157:158], v[88:89], -v[68:69]
	s_mov_b32 s22, 0x2a9d6da3
	s_mov_b32 s23, 0xbfe58eea
	v_mul_f64 v[0:1], v[143:144], s[16:17]
	v_mul_f64 v[2:3], v[134:135], s[16:17]
	v_add_f64 v[185:186], v[94:95], -v[66:67]
	v_add_f64 v[175:176], v[92:93], -v[64:65]
	v_mul_f64 v[4:5], v[173:174], s[22:23]
	v_mul_f64 v[6:7], v[157:158], s[22:23]
	s_mov_b32 s26, 0x7c9e640b
	s_mov_b32 s27, 0xbfeca52d
	buffer_store_dword v0, off, s[64:67], 0 offset:124 ; 4-byte Folded Spill
	s_nop 0
	buffer_store_dword v1, off, s[64:67], 0 offset:128 ; 4-byte Folded Spill
	buffer_store_dword v2, off, s[64:67], 0 offset:140 ; 4-byte Folded Spill
	s_nop 0
	buffer_store_dword v3, off, s[64:67], 0 offset:144 ; 4-byte Folded Spill
	;; [unrolled: 3-line block ×4, first 2 shown]
	v_mul_f64 v[8:9], v[185:186], s[26:27]
	v_mul_f64 v[10:11], v[175:176], s[26:27]
	buffer_store_dword v8, off, s[64:67], 0 offset:172 ; 4-byte Folded Spill
	s_nop 0
	buffer_store_dword v9, off, s[64:67], 0 offset:176 ; 4-byte Folded Spill
	buffer_store_dword v10, off, s[64:67], 0 offset:180 ; 4-byte Folded Spill
	s_nop 0
	buffer_store_dword v11, off, s[64:67], 0 offset:184 ; 4-byte Folded Spill
	v_add_f64 v[104:105], v[84:85], v[72:73]
	v_add_f64 v[106:107], v[86:87], v[74:75]
	s_mov_b32 s2, 0x370991
	s_mov_b32 s3, 0x3fedd6d0
	v_add_f64 v[114:115], v[88:89], v[68:69]
	v_add_f64 v[116:117], v[90:91], v[70:71]
	s_mov_b32 s4, 0x75d4884
	s_mov_b32 s5, 0x3fe7a5f6
	v_add_f64 v[120:121], v[92:93], v[64:65]
	v_add_f64 v[122:123], v[94:95], v[66:67]
	v_add_f64 v[189:190], v[82:83], -v[62:63]
	v_add_f64 v[201:202], v[80:81], -v[60:61]
	s_mov_b32 s10, 0x2b2883cd
	s_mov_b32 s28, 0xeb564b22
	s_mov_b32 s11, 0x3fdc86fa
	s_mov_b32 s29, 0xbfefdd0d
	v_add_f64 v[132:133], v[80:81], v[60:61]
	v_add_f64 v[136:137], v[82:83], v[62:63]
	v_add_f64 v[215:216], v[78:79], -v[58:59]
	v_add_f64 v[225:226], v[76:77], -v[56:57]
	s_mov_b32 s14, 0x3259b75e
	s_mov_b32 s36, 0x923c349f
	;; [unrolled: 8-line block ×4, first 2 shown]
	s_mov_b32 s25, 0xbfe348c8
	s_mov_b32 s41, 0xbfe0d888
	v_add_f64 v[161:162], v[32:33], v[48:49]
	v_add_f64 v[165:166], v[34:35], v[50:51]
	s_mov_b32 s20, 0x910ea3b9
	s_mov_b32 s21, 0xbfeb34fa
	v_mul_f64 v[16:17], v[185:186], s[38:39]
	v_mul_f64 v[18:19], v[175:176], s[38:39]
	v_add_f64 v[126:127], v[38:39], -v[46:47]
	v_add_f64 v[112:113], v[36:37], -v[44:45]
	s_mov_b32 s42, 0xacd6c6b4
	s_mov_b32 s43, 0xbfc7851a
	;; [unrolled: 1-line block ×6, first 2 shown]
	v_mul_f64 v[12:13], v[126:127], s[42:43]
	v_mul_f64 v[14:15], v[112:113], s[42:43]
	;; [unrolled: 1-line block ×3, first 2 shown]
	v_add_f64 v[179:180], v[36:37], v[44:45]
	v_mul_f64 v[22:23], v[134:135], s[26:27]
	v_add_f64 v[181:182], v[38:39], v[46:47]
	s_mov_b32 s47, 0x3feec746
	s_mov_b32 s46, s36
	;; [unrolled: 1-line block ×3, first 2 shown]
	v_fma_f64 v[0:1], v[104:105], s[2:3], v[0:1]
	v_fma_f64 v[2:3], v[106:107], s[2:3], -v[2:3]
	s_mov_b32 s54, s42
	s_mov_b32 s49, 0x3feca52d
	v_fma_f64 v[4:5], v[114:115], s[4:5], v[4:5]
	v_fma_f64 v[6:7], v[116:117], s[4:5], -v[6:7]
	s_mov_b32 s48, s26
	s_mov_b32 s51, 0x3fe58eea
	v_add_f64 v[0:1], v[28:29], v[0:1]
	v_add_f64 v[2:3], v[30:31], v[2:3]
	s_mov_b32 s50, s22
	s_mov_b32 s53, 0x3fd71e95
	;; [unrolled: 1-line block ×3, first 2 shown]
	v_mul_f64 v[171:172], v[173:174], s[42:43]
	v_mul_f64 v[187:188], v[134:135], s[28:29]
	;; [unrolled: 1-line block ×3, first 2 shown]
	v_add_f64 v[0:1], v[4:5], v[0:1]
	v_add_f64 v[2:3], v[6:7], v[2:3]
	v_fma_f64 v[4:5], v[120:121], s[10:11], v[8:9]
	v_fma_f64 v[6:7], v[122:123], s[10:11], -v[10:11]
	v_mul_f64 v[8:9], v[189:190], s[28:29]
	v_mul_f64 v[10:11], v[201:202], s[28:29]
	;; [unrolled: 1-line block ×4, first 2 shown]
	buffer_store_dword v8, off, s[64:67], 0 offset:188 ; 4-byte Folded Spill
	s_nop 0
	buffer_store_dword v9, off, s[64:67], 0 offset:192 ; 4-byte Folded Spill
	buffer_store_dword v10, off, s[64:67], 0 offset:196 ; 4-byte Folded Spill
	s_nop 0
	buffer_store_dword v11, off, s[64:67], 0 offset:200 ; 4-byte Folded Spill
	v_add_f64 v[0:1], v[4:5], v[0:1]
	v_add_f64 v[2:3], v[6:7], v[2:3]
	v_mul_f64 v[195:196], v[201:202], s[52:53]
	v_mul_f64 v[183:184], v[215:216], s[26:27]
	;; [unrolled: 1-line block ×5, first 2 shown]
	s_mov_b32 s57, 0x3fe9895b
	s_mov_b32 s56, s38
	v_mul_f64 v[205:206], v[249:250], s[56:57]
	v_mul_f64 v[207:208], v[112:113], s[50:51]
	;; [unrolled: 1-line block ×5, first 2 shown]
	s_mov_b32 s59, 0x3fefdd0d
	s_mov_b32 s58, s28
	v_mul_f64 v[213:214], v[237:238], s[58:59]
	v_mul_f64 v[217:218], v[251:252], s[16:17]
	;; [unrolled: 1-line block ×25, first 2 shown]
	v_fma_f64 v[24:25], v[116:117], s[10:11], -v[130:131]
	v_mul_f64 v[155:156], v[231:232], s[42:43]
	v_mul_f64 v[118:119], v[251:252], s[50:51]
	;; [unrolled: 1-line block ×4, first 2 shown]
	v_fma_f64 v[4:5], v[132:133], s[14:15], v[8:9]
	v_fma_f64 v[6:7], v[136:137], s[14:15], -v[10:11]
	v_mul_f64 v[8:9], v[215:216], s[36:37]
	v_mul_f64 v[10:11], v[225:226], s[36:37]
	buffer_store_dword v8, off, s[64:67], 0 offset:204 ; 4-byte Folded Spill
	s_nop 0
	buffer_store_dword v9, off, s[64:67], 0 offset:208 ; 4-byte Folded Spill
	buffer_store_dword v10, off, s[64:67], 0 offset:212 ; 4-byte Folded Spill
	s_nop 0
	buffer_store_dword v11, off, s[64:67], 0 offset:216 ; 4-byte Folded Spill
	v_add_f64 v[0:1], v[4:5], v[0:1]
	v_add_f64 v[2:3], v[6:7], v[2:3]
	v_fma_f64 v[4:5], v[145:146], s[18:19], v[8:9]
	v_fma_f64 v[6:7], v[147:148], s[18:19], -v[10:11]
	v_mul_f64 v[8:9], v[237:238], s[38:39]
	v_mul_f64 v[10:11], v[231:232], s[38:39]
	buffer_store_dword v8, off, s[64:67], 0 offset:220 ; 4-byte Folded Spill
	s_nop 0
	buffer_store_dword v9, off, s[64:67], 0 offset:224 ; 4-byte Folded Spill
	buffer_store_dword v10, off, s[64:67], 0 offset:228 ; 4-byte Folded Spill
	s_nop 0
	buffer_store_dword v11, off, s[64:67], 0 offset:232 ; 4-byte Folded Spill
	v_add_f64 v[0:1], v[4:5], v[0:1]
	v_add_f64 v[2:3], v[6:7], v[2:3]
	;; [unrolled: 12-line block ×4, first 2 shown]
	v_fma_f64 v[4:5], v[104:105], s[4:5], v[8:9]
	v_mul_f64 v[8:9], v[173:174], s[28:29]
	v_fma_f64 v[6:7], v[106:107], s[4:5], -v[10:11]
	v_mul_f64 v[10:11], v[157:158], s[28:29]
	buffer_store_dword v8, off, s[64:67], 0 offset:276 ; 4-byte Folded Spill
	s_nop 0
	buffer_store_dword v9, off, s[64:67], 0 offset:280 ; 4-byte Folded Spill
	buffer_store_dword v10, off, s[64:67], 0 offset:356 ; 4-byte Folded Spill
	s_nop 0
	buffer_store_dword v11, off, s[64:67], 0 offset:360 ; 4-byte Folded Spill
	;; [unrolled: 3-line block ×4, first 2 shown]
	v_add_f64 v[4:5], v[28:29], v[4:5]
	v_add_f64 v[6:7], v[30:31], v[6:7]
	buffer_store_dword v12, off, s[64:67], 0 offset:252 ; 4-byte Folded Spill
	s_nop 0
	buffer_store_dword v13, off, s[64:67], 0 offset:256 ; 4-byte Folded Spill
	buffer_store_dword v14, off, s[64:67], 0 offset:260 ; 4-byte Folded Spill
	s_nop 0
	buffer_store_dword v15, off, s[64:67], 0 offset:264 ; 4-byte Folded Spill
	v_fma_f64 v[8:9], v[114:115], s[14:15], v[8:9]
	v_fma_f64 v[10:11], v[116:117], s[14:15], -v[10:11]
	v_fma_f64 v[12:13], v[179:180], s[30:31], v[12:13]
	v_add_f64 v[4:5], v[8:9], v[4:5]
	v_fma_f64 v[8:9], v[120:121], s[24:25], v[16:17]
	v_add_f64 v[6:7], v[10:11], v[6:7]
	v_fma_f64 v[10:11], v[122:123], s[24:25], -v[18:19]
	v_mul_f64 v[16:17], v[189:190], s[42:43]
	v_mul_f64 v[18:19], v[201:202], s[42:43]
	buffer_store_dword v16, off, s[64:67], 0 offset:292 ; 4-byte Folded Spill
	s_nop 0
	buffer_store_dword v17, off, s[64:67], 0 offset:296 ; 4-byte Folded Spill
	buffer_store_dword v18, off, s[64:67], 0 offset:340 ; 4-byte Folded Spill
	s_nop 0
	buffer_store_dword v19, off, s[64:67], 0 offset:344 ; 4-byte Folded Spill
	v_add_f64 v[4:5], v[8:9], v[4:5]
	v_add_f64 v[6:7], v[10:11], v[6:7]
	v_fma_f64 v[14:15], v[181:182], s[30:31], -v[14:15]
	v_add_f64 v[167:168], v[12:13], v[0:1]
	v_mul_f64 v[12:13], v[173:174], s[38:39]
	v_add_f64 v[169:170], v[14:15], v[2:3]
	v_mul_f64 v[14:15], v[157:158], s[38:39]
	v_fma_f64 v[8:9], v[132:133], s[30:31], v[16:17]
	v_fma_f64 v[10:11], v[136:137], s[30:31], -v[18:19]
	v_mul_f64 v[16:17], v[215:216], s[44:45]
	v_mul_f64 v[18:19], v[225:226], s[44:45]
	buffer_store_dword v16, off, s[64:67], 0 offset:300 ; 4-byte Folded Spill
	s_nop 0
	buffer_store_dword v17, off, s[64:67], 0 offset:304 ; 4-byte Folded Spill
	buffer_store_dword v18, off, s[64:67], 0 offset:332 ; 4-byte Folded Spill
	s_nop 0
	buffer_store_dword v19, off, s[64:67], 0 offset:336 ; 4-byte Folded Spill
	;; [unrolled: 3-line block ×4, first 2 shown]
	v_add_f64 v[0:1], v[8:9], v[4:5]
	v_add_f64 v[2:3], v[10:11], v[6:7]
	buffer_store_dword v12, off, s[64:67], 0 offset:436 ; 4-byte Folded Spill
	s_nop 0
	buffer_store_dword v13, off, s[64:67], 0 offset:440 ; 4-byte Folded Spill
	buffer_store_dword v14, off, s[64:67], 0 offset:476 ; 4-byte Folded Spill
	s_nop 0
	buffer_store_dword v15, off, s[64:67], 0 offset:480 ; 4-byte Folded Spill
	v_fma_f64 v[4:5], v[145:146], s[20:21], v[16:17]
	v_fma_f64 v[6:7], v[147:148], s[20:21], -v[18:19]
	v_fma_f64 v[8:9], v[104:105], s[10:11], v[20:21]
	v_mul_f64 v[16:17], v[237:238], s[46:47]
	v_mul_f64 v[18:19], v[231:232], s[46:47]
	;; [unrolled: 1-line block ×3, first 2 shown]
	buffer_store_dword v16, off, s[64:67], 0 offset:308 ; 4-byte Folded Spill
	s_nop 0
	buffer_store_dword v17, off, s[64:67], 0 offset:312 ; 4-byte Folded Spill
	buffer_store_dword v18, off, s[64:67], 0 offset:380 ; 4-byte Folded Spill
	s_nop 0
	buffer_store_dword v19, off, s[64:67], 0 offset:384 ; 4-byte Folded Spill
	;; [unrolled: 3-line block ×3, first 2 shown]
	v_fma_f64 v[10:11], v[106:107], s[10:11], -v[22:23]
	v_mul_f64 v[22:23], v[175:176], s[54:55]
	buffer_store_dword v22, off, s[64:67], 0 offset:484 ; 4-byte Folded Spill
	s_nop 0
	buffer_store_dword v23, off, s[64:67], 0 offset:488 ; 4-byte Folded Spill
	v_add_f64 v[8:9], v[28:29], v[8:9]
	v_fma_f64 v[12:13], v[114:115], s[24:25], v[12:13]
	v_add_f64 v[10:11], v[30:31], v[10:11]
	v_fma_f64 v[14:15], v[116:117], s[24:25], -v[14:15]
	v_add_f64 v[0:1], v[4:5], v[0:1]
	v_add_f64 v[2:3], v[6:7], v[2:3]
	;; [unrolled: 1-line block ×4, first 2 shown]
	v_fma_f64 v[4:5], v[149:150], s[18:19], v[16:17]
	v_fma_f64 v[6:7], v[151:152], s[18:19], -v[18:19]
	v_fma_f64 v[12:13], v[120:121], s[30:31], v[20:21]
	v_mul_f64 v[20:21], v[189:190], s[46:47]
	buffer_store_dword v20, off, s[64:67], 0 offset:452 ; 4-byte Folded Spill
	s_nop 0
	buffer_store_dword v21, off, s[64:67], 0 offset:456 ; 4-byte Folded Spill
	v_fma_f64 v[14:15], v[122:123], s[30:31], -v[22:23]
	v_mul_f64 v[22:23], v[201:202], s[46:47]
	buffer_store_dword v22, off, s[64:67], 0 offset:492 ; 4-byte Folded Spill
	s_nop 0
	buffer_store_dword v23, off, s[64:67], 0 offset:496 ; 4-byte Folded Spill
	v_mul_f64 v[16:17], v[251:252], s[48:49]
	v_mul_f64 v[18:19], v[249:250], s[48:49]
	v_add_f64 v[8:9], v[12:13], v[8:9]
	buffer_store_dword v16, off, s[64:67], 0 offset:316 ; 4-byte Folded Spill
	s_nop 0
	buffer_store_dword v17, off, s[64:67], 0 offset:320 ; 4-byte Folded Spill
	buffer_store_dword v18, off, s[64:67], 0 offset:372 ; 4-byte Folded Spill
	s_nop 0
	buffer_store_dword v19, off, s[64:67], 0 offset:376 ; 4-byte Folded Spill
	v_add_f64 v[10:11], v[14:15], v[10:11]
	v_add_f64 v[0:1], v[4:5], v[0:1]
	;; [unrolled: 1-line block ×3, first 2 shown]
	v_fma_f64 v[12:13], v[132:133], s[18:19], v[20:21]
	v_mul_f64 v[20:21], v[215:216], s[50:51]
	buffer_store_dword v20, off, s[64:67], 0 offset:460 ; 4-byte Folded Spill
	s_nop 0
	buffer_store_dword v21, off, s[64:67], 0 offset:464 ; 4-byte Folded Spill
	v_fma_f64 v[14:15], v[136:137], s[18:19], -v[22:23]
	v_mul_f64 v[22:23], v[225:226], s[50:51]
	buffer_store_dword v22, off, s[64:67], 0 offset:500 ; 4-byte Folded Spill
	s_nop 0
	buffer_store_dword v23, off, s[64:67], 0 offset:504 ; 4-byte Folded Spill
	v_add_f64 v[8:9], v[12:13], v[8:9]
	v_fma_f64 v[4:5], v[161:162], s[10:11], v[16:17]
	v_fma_f64 v[6:7], v[165:166], s[10:11], -v[18:19]
	v_add_f64 v[10:11], v[14:15], v[10:11]
	v_mul_f64 v[16:17], v[126:127], s[52:53]
	v_mul_f64 v[18:19], v[112:113], s[52:53]
	v_add_f64 v[0:1], v[4:5], v[0:1]
	v_add_f64 v[2:3], v[6:7], v[2:3]
	v_fma_f64 v[12:13], v[145:146], s[4:5], v[20:21]
	v_mul_f64 v[20:21], v[237:238], s[16:17]
	buffer_store_dword v20, off, s[64:67], 0 offset:396 ; 4-byte Folded Spill
	s_nop 0
	buffer_store_dword v21, off, s[64:67], 0 offset:400 ; 4-byte Folded Spill
	v_fma_f64 v[14:15], v[147:148], s[4:5], -v[22:23]
	v_mul_f64 v[22:23], v[231:232], s[16:17]
	buffer_store_dword v22, off, s[64:67], 0 offset:516 ; 4-byte Folded Spill
	s_nop 0
	buffer_store_dword v23, off, s[64:67], 0 offset:520 ; 4-byte Folded Spill
	buffer_store_dword v16, off, s[64:67], 0 offset:324 ; 4-byte Folded Spill
	s_nop 0
	buffer_store_dword v17, off, s[64:67], 0 offset:328 ; 4-byte Folded Spill
	;; [unrolled: 3-line block ×3, first 2 shown]
	v_add_f64 v[8:9], v[12:13], v[8:9]
	v_add_f64 v[10:11], v[14:15], v[10:11]
	v_fma_f64 v[12:13], v[149:150], s[2:3], v[20:21]
	v_mul_f64 v[20:21], v[251:252], s[28:29]
	buffer_store_dword v20, off, s[64:67], 0 offset:404 ; 4-byte Folded Spill
	s_nop 0
	buffer_store_dword v21, off, s[64:67], 0 offset:408 ; 4-byte Folded Spill
	v_fma_f64 v[14:15], v[151:152], s[2:3], -v[22:23]
	v_mul_f64 v[22:23], v[249:250], s[28:29]
	v_fma_f64 v[4:5], v[179:180], s[2:3], v[16:17]
	v_fma_f64 v[6:7], v[181:182], s[2:3], -v[18:19]
	buffer_store_dword v22, off, s[64:67], 0 offset:508 ; 4-byte Folded Spill
	s_nop 0
	buffer_store_dword v23, off, s[64:67], 0 offset:512 ; 4-byte Folded Spill
	v_mul_f64 v[16:17], v[126:127], s[40:41]
	v_mul_f64 v[18:19], v[112:113], s[40:41]
	v_add_f64 v[0:1], v[4:5], v[0:1]
	v_add_f64 v[2:3], v[6:7], v[2:3]
	buffer_store_dword v0, off, s[64:67], 0 offset:4 ; 4-byte Folded Spill
	s_nop 0
	buffer_store_dword v1, off, s[64:67], 0 offset:8 ; 4-byte Folded Spill
	buffer_store_dword v2, off, s[64:67], 0 offset:12 ; 4-byte Folded Spill
	buffer_store_dword v3, off, s[64:67], 0 offset:16 ; 4-byte Folded Spill
	buffer_store_dword v16, off, s[64:67], 0 offset:412 ; 4-byte Folded Spill
	s_nop 0
	buffer_store_dword v17, off, s[64:67], 0 offset:416 ; 4-byte Folded Spill
	buffer_store_dword v18, off, s[64:67], 0 offset:420 ; 4-byte Folded Spill
	s_nop 0
	buffer_store_dword v19, off, s[64:67], 0 offset:424 ; 4-byte Folded Spill
	v_add_f64 v[8:9], v[12:13], v[8:9]
	v_add_f64 v[10:11], v[14:15], v[10:11]
	v_mul_f64 v[4:5], v[126:127], s[50:51]
	v_fma_f64 v[12:13], v[161:162], s[14:15], v[20:21]
	v_mul_f64 v[20:21], v[143:144], s[28:29]
	buffer_store_dword v20, off, s[64:67], 0 offset:524 ; 4-byte Folded Spill
	s_nop 0
	buffer_store_dword v21, off, s[64:67], 0 offset:528 ; 4-byte Folded Spill
	v_fma_f64 v[14:15], v[165:166], s[14:15], -v[22:23]
	v_add_f64 v[0:1], v[12:13], v[8:9]
	v_mul_f64 v[22:23], v[126:127], s[38:39]
	v_add_f64 v[2:3], v[14:15], v[10:11]
	v_mul_f64 v[14:15], v[189:190], s[52:53]
	v_fma_f64 v[8:9], v[179:180], s[20:21], v[16:17]
	v_fma_f64 v[10:11], v[181:182], s[20:21], -v[18:19]
	v_add_f64 v[0:1], v[8:9], v[0:1]
	v_add_f64 v[2:3], v[10:11], v[2:3]
	buffer_store_dword v0, off, s[64:67], 0 offset:20 ; 4-byte Folded Spill
	s_nop 0
	buffer_store_dword v1, off, s[64:67], 0 offset:24 ; 4-byte Folded Spill
	buffer_store_dword v2, off, s[64:67], 0 offset:28 ; 4-byte Folded Spill
	;; [unrolled: 1-line block ×3, first 2 shown]
	v_fma_f64 v[2:3], v[114:115], s[30:31], v[171:172]
	v_mul_f64 v[10:11], v[251:252], s[56:57]
	v_fma_f64 v[12:13], v[104:105], s[14:15], v[20:21]
	v_fma_f64 v[20:21], v[116:117], s[18:19], -v[235:236]
	v_add_f64 v[0:1], v[28:29], v[12:13]
	v_fma_f64 v[12:13], v[116:117], s[30:31], -v[191:192]
	v_add_f64 v[0:1], v[2:3], v[0:1]
	;; [unrolled: 2-line block ×3, first 2 shown]
	v_add_f64 v[2:3], v[12:13], v[2:3]
	v_fma_f64 v[12:13], v[120:121], s[18:19], v[177:178]
	v_add_f64 v[0:1], v[12:13], v[0:1]
	v_fma_f64 v[12:13], v[122:123], s[18:19], -v[197:198]
	v_add_f64 v[2:3], v[12:13], v[2:3]
	v_fma_f64 v[12:13], v[132:133], s[2:3], v[14:15]
	v_add_f64 v[0:1], v[12:13], v[0:1]
	v_fma_f64 v[12:13], v[136:137], s[2:3], -v[195:196]
	;; [unrolled: 4-line block ×6, first 2 shown]
	v_mul_f64 v[12:13], v[157:158], s[44:45]
	v_add_f64 v[8:9], v[0:1], v[2:3]
	buffer_store_dword v6, off, s[64:67], 0 offset:36 ; 4-byte Folded Spill
	s_nop 0
	buffer_store_dword v7, off, s[64:67], 0 offset:40 ; 4-byte Folded Spill
	buffer_store_dword v8, off, s[64:67], 0 offset:44 ; 4-byte Folded Spill
	;; [unrolled: 1-line block ×4, first 2 shown]
	s_nop 0
	buffer_store_dword v13, off, s[64:67], 0 offset:536 ; 4-byte Folded Spill
	v_mul_f64 v[6:7], v[143:144], s[36:37]
	v_mul_f64 v[8:9], v[173:174], s[44:45]
	v_fma_f64 v[0:1], v[104:105], s[18:19], v[6:7]
	v_fma_f64 v[2:3], v[114:115], s[20:21], v[8:9]
	v_add_f64 v[0:1], v[28:29], v[0:1]
	v_add_f64 v[0:1], v[2:3], v[0:1]
	v_fma_f64 v[2:3], v[106:107], s[18:19], -v[221:222]
	v_add_f64 v[2:3], v[30:31], v[2:3]
	v_fma_f64 v[16:17], v[116:117], s[20:21], -v[12:13]
	v_mul_f64 v[12:13], v[175:176], s[50:51]
	buffer_store_dword v12, off, s[64:67], 0 offset:548 ; 4-byte Folded Spill
	s_nop 0
	buffer_store_dword v13, off, s[64:67], 0 offset:552 ; 4-byte Folded Spill
	v_add_f64 v[2:3], v[16:17], v[2:3]
	v_fma_f64 v[16:17], v[120:121], s[4:5], v[209:210]
	v_add_f64 v[0:1], v[16:17], v[0:1]
	v_fma_f64 v[16:17], v[122:123], s[4:5], -v[12:13]
	v_mul_f64 v[12:13], v[189:190], s[26:27]
	v_add_f64 v[2:3], v[16:17], v[2:3]
	v_fma_f64 v[16:17], v[132:133], s[10:11], v[12:13]
	v_add_f64 v[0:1], v[16:17], v[0:1]
	v_mul_f64 v[16:17], v[201:202], s[26:27]
	buffer_store_dword v16, off, s[64:67], 0 offset:540 ; 4-byte Folded Spill
	s_nop 0
	buffer_store_dword v17, off, s[64:67], 0 offset:544 ; 4-byte Folded Spill
	v_fma_f64 v[16:17], v[136:137], s[10:11], -v[16:17]
	v_add_f64 v[2:3], v[16:17], v[2:3]
	v_fma_f64 v[16:17], v[145:146], s[30:31], v[211:212]
	v_add_f64 v[0:1], v[16:17], v[0:1]
	v_mul_f64 v[16:17], v[225:226], s[42:43]
	buffer_store_dword v16, off, s[64:67], 0 offset:556 ; 4-byte Folded Spill
	s_nop 0
	buffer_store_dword v17, off, s[64:67], 0 offset:560 ; 4-byte Folded Spill
	v_fma_f64 v[16:17], v[147:148], s[30:31], -v[16:17]
	;; [unrolled: 8-line block ×5, first 2 shown]
	v_add_f64 v[18:19], v[0:1], v[2:3]
	v_mul_f64 v[0:1], v[143:144], s[38:39]
	buffer_store_dword v16, off, s[64:67], 0 offset:52 ; 4-byte Folded Spill
	s_nop 0
	buffer_store_dword v17, off, s[64:67], 0 offset:56 ; 4-byte Folded Spill
	buffer_store_dword v18, off, s[64:67], 0 offset:60 ; 4-byte Folded Spill
	;; [unrolled: 1-line block ×4, first 2 shown]
	s_nop 0
	buffer_store_dword v1, off, s[64:67], 0 offset:592 ; 4-byte Folded Spill
	v_mul_f64 v[2:3], v[173:174], s[46:47]
	buffer_store_dword v2, off, s[64:67], 0 offset:596 ; 4-byte Folded Spill
	s_nop 0
	buffer_store_dword v3, off, s[64:67], 0 offset:600 ; 4-byte Folded Spill
	v_mul_f64 v[16:17], v[185:186], s[16:17]
	buffer_store_dword v16, off, s[64:67], 0 offset:612 ; 4-byte Folded Spill
	s_nop 0
	buffer_store_dword v17, off, s[64:67], 0 offset:616 ; 4-byte Folded Spill
	v_fma_f64 v[0:1], v[104:105], s[24:25], v[0:1]
	v_add_f64 v[0:1], v[28:29], v[0:1]
	v_fma_f64 v[2:3], v[114:115], s[18:19], v[2:3]
	v_add_f64 v[0:1], v[2:3], v[0:1]
	v_fma_f64 v[2:3], v[106:107], s[24:25], -v[233:234]
	v_add_f64 v[2:3], v[30:31], v[2:3]
	v_add_f64 v[2:3], v[20:21], v[2:3]
	v_fma_f64 v[20:21], v[120:121], s[2:3], v[16:17]
	v_mul_f64 v[16:17], v[189:190], s[40:41]
	buffer_store_dword v16, off, s[64:67], 0 offset:604 ; 4-byte Folded Spill
	s_nop 0
	buffer_store_dword v17, off, s[64:67], 0 offset:608 ; 4-byte Folded Spill
	v_add_f64 v[0:1], v[20:21], v[0:1]
	v_fma_f64 v[20:21], v[122:123], s[2:3], -v[241:242]
	v_add_f64 v[2:3], v[20:21], v[2:3]
	v_fma_f64 v[20:21], v[132:133], s[20:21], v[16:17]
	v_add_f64 v[0:1], v[20:21], v[0:1]
	v_fma_f64 v[20:21], v[136:137], s[20:21], -v[239:240]
	v_add_f64 v[2:3], v[20:21], v[2:3]
	v_fma_f64 v[20:21], v[145:146], s[14:15], v[219:220]
	;; [unrolled: 4-line block ×6, first 2 shown]
	v_fma_f64 v[2:3], v[114:115], s[10:11], v[98:99]
	buffer_store_dword v16, off, s[64:67], 0 offset:68 ; 4-byte Folded Spill
	s_nop 0
	buffer_store_dword v17, off, s[64:67], 0 offset:72 ; 4-byte Folded Spill
	buffer_store_dword v18, off, s[64:67], 0 offset:76 ; 4-byte Folded Spill
	;; [unrolled: 1-line block ×3, first 2 shown]
	v_add_f64 v[0:1], v[28:29], v[0:1]
	v_add_f64 v[0:1], v[2:3], v[0:1]
	v_fma_f64 v[2:3], v[106:107], s[20:21], -v[128:129]
	v_add_f64 v[2:3], v[30:31], v[2:3]
	v_add_f64 v[2:3], v[24:25], v[2:3]
	v_fma_f64 v[24:25], v[120:121], s[14:15], v[102:103]
	v_add_f64 v[0:1], v[24:25], v[0:1]
	v_fma_f64 v[24:25], v[122:123], s[14:15], -v[141:142]
	v_add_f64 v[2:3], v[24:25], v[2:3]
	v_fma_f64 v[24:25], v[132:133], s[24:25], v[100:101]
	v_add_f64 v[0:1], v[24:25], v[0:1]
	v_fma_f64 v[24:25], v[136:137], s[24:25], -v[138:139]
	;; [unrolled: 4-line block ×5, first 2 shown]
	v_add_f64 v[2:3], v[24:25], v[2:3]
	v_fma_f64 v[24:25], v[179:180], s[18:19], v[124:125]
	v_add_f64 v[16:17], v[24:25], v[0:1]
	v_mul_f64 v[0:1], v[112:113], s[36:37]
	v_fma_f64 v[26:27], v[181:182], s[18:19], -v[0:1]
	v_add_f64 v[18:19], v[26:27], v[2:3]
	v_mul_lo_u16_e32 v2, 17, v163
	buffer_store_dword v16, off, s[64:67], 0 offset:84 ; 4-byte Folded Spill
	s_nop 0
	buffer_store_dword v17, off, s[64:67], 0 offset:88 ; 4-byte Folded Spill
	buffer_store_dword v18, off, s[64:67], 0 offset:92 ; 4-byte Folded Spill
	;; [unrolled: 1-line block ×3, first 2 shown]
	s_waitcnt vmcnt(0)
	s_barrier
	buffer_store_dword v2, off, s[64:67], 0 offset:120 ; 4-byte Folded Spill
	s_mov_b64 s[34:35], exec
	s_and_b64 s[60:61], s[34:35], vcc
	buffer_store_dword v163, off, s[64:67], 0 offset:100 ; 4-byte Folded Spill
	s_mov_b64 exec, s[60:61]
	s_cbranch_execz .LBB0_7
; %bb.6:
	v_add_f64 v[84:85], v[28:29], v[84:85]
	v_add_f64 v[86:87], v[30:31], v[86:87]
	v_mul_f64 v[143:144], v[143:144], s[42:43]
	v_mul_f64 v[173:174], v[173:174], s[52:53]
	;; [unrolled: 1-line block ×4, first 2 shown]
	buffer_store_dword v167, off, s[64:67], 0 offset:104 ; 4-byte Folded Spill
	s_nop 0
	buffer_store_dword v168, off, s[64:67], 0 offset:108 ; 4-byte Folded Spill
	buffer_store_dword v169, off, s[64:67], 0 offset:112 ; 4-byte Folded Spill
	;; [unrolled: 1-line block ×3, first 2 shown]
	v_mul_f64 v[167:168], v[136:137], s[4:5]
	v_add_f64 v[84:85], v[84:85], v[88:89]
	v_mul_f64 v[88:89], v[106:107], s[30:31]
	v_add_f64 v[86:87], v[86:87], v[90:91]
	v_mul_f64 v[90:91], v[116:117], s[2:3]
	v_fma_f64 v[2:3], v[114:115], s[2:3], v[173:174]
	v_mul_f64 v[189:190], v[189:190], s[50:51]
	v_mul_f64 v[169:170], v[147:148], s[24:25]
	v_mov_b32_e32 v25, v5
	v_add_f64 v[92:93], v[84:85], v[92:93]
	v_fma_f64 v[84:85], v[134:135], s[54:55], v[88:89]
	v_add_f64 v[94:95], v[86:87], v[94:95]
	v_fma_f64 v[86:87], v[157:158], s[16:17], v[90:91]
	v_mov_b32_e32 v24, v4
	v_mul_f64 v[4:5], v[151:152], s[10:11]
	v_mov_b32_e32 v17, v13
	v_mov_b32_e32 v16, v12
	;; [unrolled: 1-line block ×3, first 2 shown]
	v_add_f64 v[84:85], v[30:31], v[84:85]
	v_mov_b32_e32 v19, v9
	v_mul_f64 v[215:216], v[215:216], s[38:39]
	v_mov_b32_e32 v12, v6
	v_fma_f64 v[6:7], v[231:232], s[26:27], v[4:5]
	v_mov_b32_e32 v18, v8
	v_mul_f64 v[8:9], v[165:166], s[18:19]
	v_mov_b32_e32 v21, v11
	v_add_f64 v[84:85], v[86:87], v[84:85]
	v_fma_f64 v[86:87], v[104:105], s[30:31], v[143:144]
	v_mul_f64 v[237:238], v[237:238], s[48:49]
	v_mov_b32_e32 v20, v10
	v_mul_f64 v[126:127], v[126:127], s[58:59]
	v_fma_f64 v[4:5], v[231:232], s[48:49], v[4:5]
	v_fma_f64 v[10:11], v[249:250], s[46:47], v[8:9]
	;; [unrolled: 1-line block ×3, first 2 shown]
	v_add_f64 v[86:87], v[28:29], v[86:87]
	v_add_f64 v[2:3], v[2:3], v[86:87]
	v_fma_f64 v[86:87], v[175:176], s[44:45], v[163:164]
	v_add_f64 v[84:85], v[86:87], v[84:85]
	v_fma_f64 v[86:87], v[120:121], s[20:21], v[185:186]
	;; [unrolled: 2-line block ×6, first 2 shown]
	v_add_f64 v[6:7], v[6:7], v[84:85]
	v_add_f64 v[2:3], v[86:87], v[2:3]
	v_fma_f64 v[84:85], v[149:150], s[10:11], v[237:238]
	v_add_f64 v[6:7], v[10:11], v[6:7]
	v_mul_f64 v[10:11], v[251:252], s[36:37]
	v_add_f64 v[2:3], v[84:85], v[2:3]
	v_mul_f64 v[251:252], v[181:182], s[14:15]
	v_fma_f64 v[84:85], v[161:162], s[18:19], v[10:11]
	v_add_f64 v[2:3], v[84:85], v[2:3]
	v_fma_f64 v[84:85], v[112:113], s[28:29], v[251:252]
	v_add_f64 v[86:87], v[84:85], v[6:7]
	;; [unrolled: 2-line block ×3, first 2 shown]
	v_fma_f64 v[2:3], v[134:135], s[42:43], v[88:89]
	v_fma_f64 v[88:89], v[157:158], s[52:53], v[90:91]
	;; [unrolled: 1-line block ×3, first 2 shown]
	v_mul_f64 v[134:135], v[145:146], s[4:5]
	v_mul_f64 v[175:176], v[179:180], s[2:3]
	v_add_f64 v[2:3], v[30:31], v[2:3]
	v_add_f64 v[2:3], v[88:89], v[2:3]
	v_fma_f64 v[88:89], v[201:202], s[50:51], v[167:168]
	v_add_f64 v[2:3], v[6:7], v[2:3]
	v_fma_f64 v[6:7], v[225:226], s[38:39], v[169:170]
	v_add_f64 v[2:3], v[88:89], v[2:3]
	v_fma_f64 v[88:89], v[114:115], s[2:3], -v[173:174]
	v_mul_f64 v[173:174], v[181:182], s[30:31]
	v_add_f64 v[2:3], v[6:7], v[2:3]
	v_fma_f64 v[6:7], v[112:113], s[58:59], v[251:252]
	v_add_f64 v[2:3], v[4:5], v[2:3]
	v_fma_f64 v[4:5], v[104:105], s[30:31], -v[143:144]
	v_add_f64 v[2:3], v[8:9], v[2:3]
	v_add_f64 v[4:5], v[28:29], v[4:5]
	v_fma_f64 v[8:9], v[120:121], s[20:21], -v[185:186]
	v_add_f64 v[90:91], v[6:7], v[2:3]
	v_add_f64 v[4:5], v[88:89], v[4:5]
	v_mul_f64 v[6:7], v[122:123], s[14:15]
	v_add_f64 v[2:3], v[94:95], v[82:83]
	v_mul_f64 v[94:95], v[104:105], s[18:19]
	v_add_f64 v[4:5], v[8:9], v[4:5]
	v_fma_f64 v[8:9], v[132:133], s[4:5], -v[189:190]
	v_add_f64 v[6:7], v[141:142], v[6:7]
	v_add_f64 v[94:95], v[94:95], -v[12:13]
	v_add_f64 v[4:5], v[8:9], v[4:5]
	v_fma_f64 v[8:9], v[145:146], s[24:25], -v[215:216]
	v_add_f64 v[94:95], v[28:29], v[94:95]
	v_add_f64 v[4:5], v[8:9], v[4:5]
	v_fma_f64 v[8:9], v[149:150], s[10:11], -v[237:238]
	v_add_f64 v[4:5], v[8:9], v[4:5]
	v_fma_f64 v[8:9], v[161:162], s[18:19], -v[10:11]
	v_mul_f64 v[10:11], v[116:117], s[10:11]
	v_add_f64 v[4:5], v[8:9], v[4:5]
	v_fma_f64 v[8:9], v[179:180], s[14:15], -v[126:127]
	v_add_f64 v[10:11], v[130:131], v[10:11]
	v_mul_f64 v[126:127], v[151:152], s[2:3]
	v_mul_f64 v[130:131], v[104:105], s[4:5]
	v_add_f64 v[88:89], v[8:9], v[4:5]
	v_mul_f64 v[8:9], v[106:107], s[20:21]
	v_add_f64 v[4:5], v[92:93], v[80:81]
	v_mul_f64 v[80:81], v[114:115], s[10:11]
	v_mul_f64 v[92:93], v[116:117], s[20:21]
	v_add_f64 v[8:9], v[128:129], v[8:9]
	v_add_f64 v[80:81], v[80:81], -v[98:99]
	v_add_f64 v[8:9], v[30:31], v[8:9]
	v_add_f64 v[8:9], v[10:11], v[8:9]
	v_mul_f64 v[10:11], v[136:137], s[24:25]
	v_add_f64 v[6:7], v[6:7], v[8:9]
	v_add_f64 v[10:11], v[138:139], v[10:11]
	v_mul_f64 v[8:9], v[147:148], s[2:3]
	v_add_f64 v[6:7], v[10:11], v[6:7]
	v_add_f64 v[8:9], v[153:154], v[8:9]
	v_mul_f64 v[10:11], v[151:152], s[30:31]
	v_add_f64 v[6:7], v[8:9], v[6:7]
	v_add_f64 v[10:11], v[155:156], v[10:11]
	v_mul_f64 v[8:9], v[165:166], s[4:5]
	v_add_f64 v[6:7], v[10:11], v[6:7]
	v_mul_f64 v[10:11], v[181:182], s[18:19]
	v_add_f64 v[8:9], v[159:160], v[8:9]
	v_add_f64 v[0:1], v[0:1], v[10:11]
	v_mul_f64 v[10:11], v[104:105], s[20:21]
	v_add_f64 v[6:7], v[8:9], v[6:7]
	v_mul_f64 v[8:9], v[120:121], s[14:15]
	v_add_f64 v[10:11], v[10:11], -v[96:97]
	v_add_f64 v[82:83], v[0:1], v[6:7]
	v_add_f64 v[8:9], v[8:9], -v[102:103]
	v_mul_f64 v[6:7], v[106:107], s[24:25]
	v_add_f64 v[0:1], v[2:3], v[78:79]
	v_add_f64 v[2:3], v[4:5], v[76:77]
	v_mul_f64 v[4:5], v[122:123], s[2:3]
	v_mul_f64 v[76:77], v[114:115], s[18:19]
	v_add_f64 v[10:11], v[28:29], v[10:11]
	v_mul_f64 v[96:97], v[114:115], s[20:21]
	v_add_f64 v[6:7], v[233:234], v[6:7]
	v_add_f64 v[0:1], v[0:1], v[42:43]
	;; [unrolled: 1-line block ×5, first 2 shown]
	v_mul_f64 v[80:81], v[132:133], s[24:25]
	v_add_f64 v[96:97], v[96:97], -v[18:19]
	v_add_f64 v[6:7], v[30:31], v[6:7]
	v_add_f64 v[0:1], v[0:1], v[34:35]
	;; [unrolled: 1-line block ×4, first 2 shown]
	v_add_f64 v[80:81], v[80:81], -v[100:101]
	v_mul_f64 v[10:11], v[145:146], s[2:3]
	v_add_f64 v[94:95], v[96:97], v[94:95]
	v_mul_f64 v[96:97], v[132:133], s[10:11]
	v_add_f64 v[0:1], v[0:1], v[38:39]
	v_add_f64 v[2:3], v[2:3], v[36:37]
	;; [unrolled: 1-line block ×3, first 2 shown]
	v_add_f64 v[10:11], v[10:11], -v[108:109]
	v_mul_f64 v[80:81], v[149:150], s[30:31]
	v_add_f64 v[96:97], v[96:97], -v[16:17]
	v_mul_f64 v[108:109], v[104:105], s[14:15]
	v_add_f64 v[0:1], v[0:1], v[46:47]
	v_add_f64 v[2:3], v[2:3], v[44:45]
	;; [unrolled: 1-line block ×3, first 2 shown]
	v_add_f64 v[80:81], v[80:81], -v[110:111]
	v_mul_f64 v[10:11], v[161:162], s[4:5]
	v_mul_f64 v[110:111], v[114:115], s[30:31]
	v_add_f64 v[0:1], v[0:1], v[50:51]
	v_add_f64 v[2:3], v[2:3], v[48:49]
	;; [unrolled: 1-line block ×3, first 2 shown]
	v_add_f64 v[10:11], v[10:11], -v[118:119]
	v_mul_f64 v[80:81], v[179:180], s[18:19]
	v_add_f64 v[110:111], v[110:111], -v[171:172]
	v_mul_f64 v[171:172], v[179:180], s[30:31]
	v_add_f64 v[2:3], v[2:3], v[52:53]
	v_add_f64 v[0:1], v[0:1], v[54:55]
	;; [unrolled: 1-line block ×3, first 2 shown]
	buffer_load_dword v10, off, s[64:67], 0 offset:612 ; 4-byte Folded Reload
	buffer_load_dword v11, off, s[64:67], 0 offset:616 ; 4-byte Folded Reload
	v_add_f64 v[80:81], v[80:81], -v[124:125]
	buffer_load_dword v26, off, s[64:67], 0 offset:588 ; 4-byte Folded Reload
	buffer_load_dword v27, off, s[64:67], 0 offset:592 ; 4-byte Folded Reload
	v_add_f64 v[2:3], v[2:3], v[56:57]
	v_add_f64 v[0:1], v[0:1], v[58:59]
	;; [unrolled: 1-line block ×3, first 2 shown]
	v_mul_f64 v[8:9], v[116:117], s[18:19]
	v_add_f64 v[2:3], v[2:3], v[60:61]
	v_add_f64 v[0:1], v[0:1], v[62:63]
	;; [unrolled: 1-line block ×6, first 2 shown]
	v_mul_f64 v[8:9], v[136:137], s[20:21]
	v_add_f64 v[0:1], v[0:1], v[70:71]
	v_add_f64 v[2:3], v[2:3], v[68:69]
	;; [unrolled: 1-line block ×4, first 2 shown]
	v_mul_f64 v[6:7], v[147:148], s[14:15]
	v_add_f64 v[4:5], v[8:9], v[4:5]
	v_add_f64 v[6:7], v[243:244], v[6:7]
	v_mul_f64 v[8:9], v[151:152], s[4:5]
	v_add_f64 v[4:5], v[6:7], v[4:5]
	v_add_f64 v[8:9], v[245:246], v[8:9]
	;; [unrolled: 3-line block ×3, first 2 shown]
	v_mul_f64 v[8:9], v[181:182], s[10:11]
	v_add_f64 v[4:5], v[6:7], v[4:5]
	v_mul_f64 v[6:7], v[120:121], s[2:3]
	v_add_f64 v[8:9], v[253:254], v[8:9]
	s_waitcnt vmcnt(2)
	v_add_f64 v[6:7], v[6:7], -v[10:11]
	v_mul_f64 v[10:11], v[104:105], s[24:25]
	s_waitcnt vmcnt(0)
	v_add_f64 v[10:11], v[10:11], -v[26:27]
	buffer_load_dword v26, off, s[64:67], 0 offset:596 ; 4-byte Folded Reload
	buffer_load_dword v27, off, s[64:67], 0 offset:600 ; 4-byte Folded Reload
	v_add_f64 v[10:11], v[28:29], v[10:11]
	s_waitcnt vmcnt(0)
	v_add_f64 v[76:77], v[76:77], -v[26:27]
	buffer_load_dword v26, off, s[64:67], 0 offset:604 ; 4-byte Folded Reload
	buffer_load_dword v27, off, s[64:67], 0 offset:608 ; 4-byte Folded Reload
	v_add_f64 v[10:11], v[76:77], v[10:11]
	v_mul_f64 v[76:77], v[132:133], s[20:21]
	v_add_f64 v[6:7], v[6:7], v[10:11]
	v_mul_f64 v[10:11], v[145:146], s[14:15]
	v_add_f64 v[10:11], v[10:11], -v[219:220]
	s_waitcnt vmcnt(0)
	v_add_f64 v[76:77], v[76:77], -v[26:27]
	buffer_load_dword v26, off, s[64:67], 0 offset:548 ; 4-byte Folded Reload
	buffer_load_dword v27, off, s[64:67], 0 offset:552 ; 4-byte Folded Reload
	v_add_f64 v[6:7], v[76:77], v[6:7]
	v_mul_f64 v[76:77], v[149:150], s[4:5]
	v_add_f64 v[6:7], v[10:11], v[6:7]
	v_add_f64 v[76:77], v[76:77], -v[223:224]
	v_mul_f64 v[10:11], v[161:162], s[30:31]
	v_add_f64 v[6:7], v[76:77], v[6:7]
	v_add_f64 v[10:11], v[10:11], -v[227:228]
	v_mul_f64 v[76:77], v[179:180], s[10:11]
	v_add_f64 v[6:7], v[10:11], v[6:7]
	v_mul_f64 v[10:11], v[122:123], s[4:5]
	v_add_f64 v[78:79], v[76:77], -v[229:230]
	v_mul_f64 v[76:77], v[106:107], s[18:19]
	v_add_f64 v[76:77], v[221:222], v[76:77]
	v_add_f64 v[76:77], v[30:31], v[76:77]
	s_waitcnt vmcnt(0)
	v_add_f64 v[10:11], v[26:27], v[10:11]
	buffer_load_dword v26, off, s[64:67], 0 offset:532 ; 4-byte Folded Reload
	buffer_load_dword v27, off, s[64:67], 0 offset:536 ; 4-byte Folded Reload
	s_waitcnt vmcnt(0)
	v_add_f64 v[92:93], v[26:27], v[92:93]
	buffer_load_dword v26, off, s[64:67], 0 offset:540 ; 4-byte Folded Reload
	buffer_load_dword v27, off, s[64:67], 0 offset:544 ; 4-byte Folded Reload
	v_add_f64 v[76:77], v[92:93], v[76:77]
	v_mul_f64 v[92:93], v[136:137], s[10:11]
	v_add_f64 v[10:11], v[10:11], v[76:77]
	v_mul_f64 v[76:77], v[147:148], s[30:31]
	s_waitcnt vmcnt(0)
	v_add_f64 v[92:93], v[26:27], v[92:93]
	buffer_load_dword v26, off, s[64:67], 0 offset:556 ; 4-byte Folded Reload
	buffer_load_dword v27, off, s[64:67], 0 offset:560 ; 4-byte Folded Reload
	v_add_f64 v[10:11], v[92:93], v[10:11]
	v_mul_f64 v[92:93], v[151:152], s[14:15]
	s_waitcnt vmcnt(0)
	v_add_f64 v[76:77], v[26:27], v[76:77]
	buffer_load_dword v26, off, s[64:67], 0 offset:564 ; 4-byte Folded Reload
	buffer_load_dword v27, off, s[64:67], 0 offset:568 ; 4-byte Folded Reload
	;; [unrolled: 6-line block ×4, first 2 shown]
	buffer_load_dword v12, off, s[64:67], 0 offset:524 ; 4-byte Folded Reload
	buffer_load_dword v13, off, s[64:67], 0 offset:528 ; 4-byte Folded Reload
	;; [unrolled: 1-line block ×8, first 2 shown]
	v_add_f64 v[10:11], v[76:77], v[10:11]
	v_mul_f64 v[76:77], v[120:121], s[4:5]
	v_add_f64 v[76:77], v[76:77], -v[209:210]
	v_add_f64 v[76:77], v[76:77], v[94:95]
	v_mul_f64 v[94:95], v[145:146], s[30:31]
	v_add_f64 v[76:77], v[96:97], v[76:77]
	v_add_f64 v[94:95], v[94:95], -v[211:212]
	v_mul_f64 v[96:97], v[149:150], s[14:15]
	v_add_f64 v[76:77], v[94:95], v[76:77]
	v_add_f64 v[96:97], v[96:97], -v[213:214]
	;; [unrolled: 3-line block ×3, first 2 shown]
	v_mul_f64 v[96:97], v[179:180], s[24:25]
	v_add_f64 v[102:103], v[94:95], v[76:77]
	v_mul_f64 v[94:95], v[106:107], s[14:15]
	v_add_f64 v[100:101], v[96:97], -v[22:23]
	v_mul_f64 v[96:97], v[116:117], s[30:31]
	v_mul_f64 v[76:77], v[122:123], s[18:19]
	v_add_f64 v[94:95], v[187:188], v[94:95]
	v_add_f64 v[96:97], v[191:192], v[96:97]
	;; [unrolled: 1-line block ×4, first 2 shown]
	s_waitcnt vmcnt(8)
	v_add_f64 v[92:93], v[26:27], v[92:93]
	s_waitcnt vmcnt(6)
	v_add_f64 v[108:109], v[108:109], -v[12:13]
	v_add_f64 v[94:95], v[96:97], v[94:95]
	v_mul_f64 v[96:97], v[136:137], s[2:3]
	v_add_f64 v[108:109], v[28:29], v[108:109]
	v_add_f64 v[76:77], v[76:77], v[94:95]
	;; [unrolled: 1-line block ×3, first 2 shown]
	v_mul_f64 v[94:95], v[147:148], s[10:11]
	v_add_f64 v[108:109], v[110:111], v[108:109]
	v_mul_f64 v[110:111], v[132:133], s[2:3]
	v_add_f64 v[76:77], v[96:97], v[76:77]
	v_add_f64 v[94:95], v[199:200], v[94:95]
	v_mul_f64 v[96:97], v[151:152], s[20:21]
	v_add_f64 v[110:111], v[110:111], -v[14:15]
	v_add_f64 v[76:77], v[94:95], v[76:77]
	v_add_f64 v[96:97], v[203:204], v[96:97]
	v_mul_f64 v[94:95], v[165:166], s[24:25]
	v_add_f64 v[76:77], v[96:97], v[76:77]
	v_add_f64 v[94:95], v[205:206], v[94:95]
	v_mul_f64 v[96:97], v[181:182], s[4:5]
	v_add_f64 v[98:99], v[94:95], v[76:77]
	v_mul_f64 v[94:95], v[120:121], s[18:19]
	v_mul_f64 v[76:77], v[149:150], s[20:21]
	v_add_f64 v[96:97], v[207:208], v[96:97]
	v_add_f64 v[94:95], v[94:95], -v[177:178]
	v_add_f64 v[76:77], v[76:77], -v[193:194]
	v_add_f64 v[98:99], v[96:97], v[98:99]
	v_mul_f64 v[177:178], v[181:182], s[2:3]
	v_mul_f64 v[181:182], v[181:182], s[20:21]
	v_add_f64 v[94:95], v[94:95], v[108:109]
	v_mul_f64 v[108:109], v[145:146], s[10:11]
	v_add_f64 v[94:95], v[110:111], v[94:95]
	v_mul_f64 v[110:111], v[122:123], s[30:31]
	v_add_f64 v[108:109], v[108:109], -v[183:184]
	s_waitcnt vmcnt(4)
	v_add_f64 v[110:111], v[112:113], v[110:111]
	v_mul_f64 v[112:113], v[106:107], s[10:11]
	v_add_f64 v[94:95], v[108:109], v[94:95]
	v_mul_f64 v[108:109], v[104:105], s[2:3]
	v_mul_f64 v[104:105], v[104:105], s[10:11]
	s_waitcnt vmcnt(2)
	v_add_f64 v[112:113], v[118:119], v[112:113]
	v_mul_f64 v[118:119], v[116:117], s[24:25]
	v_add_f64 v[76:77], v[76:77], v[94:95]
	v_mul_f64 v[94:95], v[106:107], s[4:5]
	v_add_f64 v[112:113], v[30:31], v[112:113]
	s_waitcnt vmcnt(0)
	v_add_f64 v[118:119], v[124:125], v[118:119]
	buffer_load_dword v124, off, s[64:67], 0 offset:492 ; 4-byte Folded Reload
	buffer_load_dword v125, off, s[64:67], 0 offset:496 ; 4-byte Folded Reload
	;; [unrolled: 1-line block ×4, first 2 shown]
	v_add_f64 v[112:113], v[118:119], v[112:113]
	v_mul_f64 v[118:119], v[136:137], s[18:19]
	v_add_f64 v[110:111], v[110:111], v[112:113]
	v_mul_f64 v[112:113], v[147:148], s[4:5]
	s_waitcnt vmcnt(2)
	v_add_f64 v[118:119], v[124:125], v[118:119]
	s_waitcnt vmcnt(0)
	v_add_f64 v[112:113], v[128:129], v[112:113]
	v_mul_f64 v[128:129], v[106:107], s[2:3]
	buffer_load_dword v106, off, s[64:67], 0 offset:516 ; 4-byte Folded Reload
	buffer_load_dword v107, off, s[64:67], 0 offset:520 ; 4-byte Folded Reload
	;; [unrolled: 1-line block ×16, first 2 shown]
	v_add_f64 v[110:111], v[118:119], v[110:111]
	v_mul_f64 v[124:125], v[161:162], s[24:25]
	buffer_load_dword v163, off, s[64:67], 0 offset:356 ; 4-byte Folded Reload
	buffer_load_dword v164, off, s[64:67], 0 offset:360 ; 4-byte Folded Reload
	;; [unrolled: 1-line block ×6, first 2 shown]
	v_mul_f64 v[118:119], v[179:180], s[4:5]
	v_mul_f64 v[179:180], v[179:180], s[20:21]
	v_add_f64 v[110:111], v[112:113], v[110:111]
	v_mul_f64 v[112:113], v[114:115], s[4:5]
	v_add_f64 v[124:125], v[124:125], -v[20:21]
	v_add_f64 v[118:119], v[118:119], -v[24:25]
	v_add_f64 v[124:125], v[124:125], v[76:77]
	v_mul_f64 v[76:77], v[132:133], s[18:19]
	s_waitcnt vmcnt(20)
	v_add_f64 v[106:107], v[106:107], v[126:127]
	v_mul_f64 v[126:127], v[165:166], s[14:15]
	s_waitcnt vmcnt(16)
	v_add_f64 v[134:135], v[134:135], -v[141:142]
	v_mul_f64 v[141:142], v[120:121], s[10:11]
	s_waitcnt vmcnt(12)
	v_add_f64 v[104:105], v[104:105], -v[153:154]
	v_mul_f64 v[153:154], v[120:121], s[24:25]
	v_mul_f64 v[120:121], v[120:121], s[30:31]
	v_add_f64 v[76:77], v[76:77], -v[143:144]
	v_add_f64 v[106:107], v[106:107], v[110:111]
	v_mul_f64 v[110:111], v[114:115], s[14:15]
	v_mul_f64 v[114:115], v[114:115], s[24:25]
	v_add_f64 v[126:127], v[138:139], v[126:127]
	v_add_f64 v[104:105], v[28:29], v[104:105]
	v_mul_f64 v[138:139], v[116:117], s[4:5]
	s_waitcnt vmcnt(6)
	v_add_f64 v[120:121], v[120:121], -v[159:160]
	v_mul_f64 v[116:117], v[116:117], s[14:15]
	v_add_f64 v[94:95], v[157:158], v[94:95]
	v_mul_f64 v[143:144], v[122:123], s[10:11]
	v_add_f64 v[114:115], v[114:115], -v[155:156]
	v_mul_f64 v[122:123], v[122:123], s[24:25]
	v_mul_f64 v[157:158], v[136:137], s[14:15]
	;; [unrolled: 1-line block ×4, first 2 shown]
	s_waitcnt vmcnt(4)
	v_add_f64 v[116:117], v[163:164], v[116:117]
	v_mul_f64 v[163:164], v[147:148], s[18:19]
	v_mul_f64 v[147:148], v[147:148], s[20:21]
	v_add_f64 v[104:105], v[114:115], v[104:105]
	v_add_f64 v[94:95], v[30:31], v[94:95]
	s_waitcnt vmcnt(2)
	v_add_f64 v[122:123], v[167:168], v[122:123]
	v_mul_f64 v[167:168], v[151:152], s[24:25]
	v_mul_f64 v[151:152], v[151:152], s[18:19]
	s_waitcnt vmcnt(0)
	v_add_f64 v[136:137], v[169:170], v[136:137]
	v_mul_f64 v[114:115], v[149:150], s[24:25]
	v_mul_f64 v[169:170], v[165:166], s[20:21]
	v_add_f64 v[104:105], v[120:121], v[104:105]
	v_add_f64 v[94:95], v[116:117], v[94:95]
	v_mul_f64 v[116:117], v[149:150], s[18:19]
	v_mul_f64 v[149:150], v[149:150], s[2:3]
	;; [unrolled: 1-line block ×6, first 2 shown]
	v_add_f64 v[104:105], v[76:77], v[104:105]
	buffer_load_dword v76, off, s[64:67], 0 offset:332 ; 4-byte Folded Reload
	buffer_load_dword v77, off, s[64:67], 0 offset:336 ; 4-byte Folded Reload
	v_add_f64 v[94:95], v[122:123], v[94:95]
	v_add_f64 v[42:43], v[126:127], v[106:107]
	v_mul_f64 v[120:121], v[161:162], s[20:21]
	v_mul_f64 v[122:123], v[161:162], s[10:11]
	;; [unrolled: 1-line block ×3, first 2 shown]
	v_add_f64 v[40:41], v[134:135], v[104:105]
	v_add_f64 v[136:137], v[136:137], v[94:95]
	;; [unrolled: 1-line block ×3, first 2 shown]
	s_waitcnt vmcnt(0)
	v_add_f64 v[147:148], v[76:77], v[147:148]
	buffer_load_dword v76, off, s[64:67], 0 offset:380 ; 4-byte Folded Reload
	buffer_load_dword v77, off, s[64:67], 0 offset:384 ; 4-byte Folded Reload
	s_waitcnt vmcnt(0)
	v_add_f64 v[151:152], v[76:77], v[151:152]
	v_add_f64 v[76:77], v[8:9], v[4:5]
	buffer_load_dword v8, off, s[64:67], 0 offset:420 ; 4-byte Folded Reload
	buffer_load_dword v9, off, s[64:67], 0 offset:424 ; 4-byte Folded Reload
	;; [unrolled: 1-line block ×8, first 2 shown]
	v_add_f64 v[4:5], v[147:148], v[136:137]
	v_add_f64 v[4:5], v[151:152], v[4:5]
	s_waitcnt vmcnt(6)
	v_add_f64 v[8:9], v[8:9], v[181:182]
	s_waitcnt vmcnt(4)
	v_add_f64 v[10:11], v[149:150], -v[10:11]
	s_waitcnt vmcnt(2)
	v_add_f64 v[92:93], v[92:93], v[165:166]
	s_waitcnt vmcnt(0)
	v_add_f64 v[96:97], v[179:180], -v[32:33]
	buffer_load_dword v32, off, s[64:67], 0 offset:404 ; 4-byte Folded Reload
	buffer_load_dword v33, off, s[64:67], 0 offset:408 ; 4-byte Folded Reload
	;; [unrolled: 1-line block ×4, first 2 shown]
	v_add_f64 v[10:11], v[10:11], v[40:41]
	buffer_load_dword v40, off, s[64:67], 0 offset:140 ; 4-byte Folded Reload
	buffer_load_dword v41, off, s[64:67], 0 offset:144 ; 4-byte Folded Reload
	;; [unrolled: 1-line block ×6, first 2 shown]
	v_add_f64 v[4:5], v[92:93], v[4:5]
	buffer_load_dword v92, off, s[64:67], 0 offset:276 ; 4-byte Folded Reload
	buffer_load_dword v93, off, s[64:67], 0 offset:280 ; 4-byte Folded Reload
	;; [unrolled: 1-line block ×4, first 2 shown]
	s_waitcnt vmcnt(12)
	v_add_f64 v[32:33], v[161:162], -v[32:33]
	s_waitcnt vmcnt(10)
	v_add_f64 v[34:35], v[34:35], v[177:178]
	s_waitcnt vmcnt(8)
	v_add_f64 v[40:41], v[40:41], v[128:129]
	s_waitcnt vmcnt(6)
	v_add_f64 v[36:37], v[108:109], -v[36:37]
	s_waitcnt vmcnt(4)
	v_add_f64 v[38:39], v[130:131], -v[38:39]
	v_add_f64 v[10:11], v[32:33], v[10:11]
	s_waitcnt vmcnt(2)
	v_add_f64 v[92:93], v[110:111], -v[92:93]
	s_waitcnt vmcnt(0)
	v_add_f64 v[104:105], v[104:105], v[138:139]
	v_add_f64 v[34:35], v[34:35], v[4:5]
	;; [unrolled: 1-line block ×3, first 2 shown]
	buffer_load_dword v40, off, s[64:67], 0 offset:156 ; 4-byte Folded Reload
	buffer_load_dword v41, off, s[64:67], 0 offset:160 ; 4-byte Folded Reload
	v_add_f64 v[36:37], v[28:29], v[36:37]
	v_add_f64 v[28:29], v[28:29], v[38:39]
	buffer_load_dword v38, off, s[64:67], 0 offset:284 ; 4-byte Folded Reload
	buffer_load_dword v39, off, s[64:67], 0 offset:288 ; 4-byte Folded Reload
	buffer_load_dword v44, off, s[64:67], 0 offset:180 ; 4-byte Folded Reload
	buffer_load_dword v45, off, s[64:67], 0 offset:184 ; 4-byte Folded Reload
	buffer_load_dword v46, off, s[64:67], 0 offset:172 ; 4-byte Folded Reload
	buffer_load_dword v47, off, s[64:67], 0 offset:176 ; 4-byte Folded Reload
	v_add_f64 v[30:31], v[104:105], v[30:31]
	v_add_f64 v[28:29], v[92:93], v[28:29]
	;; [unrolled: 1-line block ×3, first 2 shown]
	s_waitcnt vmcnt(6)
	v_add_f64 v[40:41], v[112:113], -v[40:41]
	s_waitcnt vmcnt(4)
	v_add_f64 v[38:39], v[153:154], -v[38:39]
	s_waitcnt vmcnt(2)
	v_add_f64 v[44:45], v[44:45], v[143:144]
	s_waitcnt vmcnt(0)
	v_add_f64 v[46:47], v[141:142], -v[46:47]
	v_add_f64 v[36:37], v[40:41], v[36:37]
	buffer_load_dword v40, off, s[64:67], 0 offset:292 ; 4-byte Folded Reload
	buffer_load_dword v41, off, s[64:67], 0 offset:296 ; 4-byte Folded Reload
	;; [unrolled: 1-line block ×4, first 2 shown]
	v_add_f64 v[28:29], v[38:39], v[28:29]
	v_add_f64 v[30:31], v[44:45], v[30:31]
	buffer_load_dword v44, off, s[64:67], 0 offset:188 ; 4-byte Folded Reload
	buffer_load_dword v45, off, s[64:67], 0 offset:192 ; 4-byte Folded Reload
	;; [unrolled: 1-line block ×4, first 2 shown]
	v_add_f64 v[36:37], v[46:47], v[36:37]
	buffer_load_dword v46, off, s[64:67], 0 offset:212 ; 4-byte Folded Reload
	buffer_load_dword v47, off, s[64:67], 0 offset:216 ; 4-byte Folded Reload
	buffer_load_dword v52, off, s[64:67], 0 ; 4-byte Folded Reload
	s_waitcnt vmcnt(9)
	v_add_f64 v[40:41], v[132:133], -v[40:41]
	s_waitcnt vmcnt(7)
	v_add_f64 v[48:49], v[48:49], v[157:158]
	s_waitcnt vmcnt(5)
	v_add_f64 v[44:45], v[155:156], -v[44:45]
	s_waitcnt vmcnt(3)
	v_add_f64 v[38:39], v[145:146], -v[38:39]
	s_waitcnt vmcnt(1)
	v_add_f64 v[46:47], v[46:47], v[163:164]
	buffer_load_dword v163, off, s[64:67], 0 offset:100 ; 4-byte Folded Reload
	v_add_f64 v[30:31], v[48:49], v[30:31]
	buffer_load_dword v48, off, s[64:67], 0 offset:204 ; 4-byte Folded Reload
	buffer_load_dword v49, off, s[64:67], 0 offset:208 ; 4-byte Folded Reload
	v_add_f64 v[36:37], v[44:45], v[36:37]
	v_add_f64 v[28:29], v[40:41], v[28:29]
	buffer_load_dword v40, off, s[64:67], 0 offset:308 ; 4-byte Folded Reload
	buffer_load_dword v41, off, s[64:67], 0 offset:312 ; 4-byte Folded Reload
	;; [unrolled: 1-line block ×4, first 2 shown]
	s_waitcnt vmcnt(7)
	v_lshlrev_b32_e32 v164, 4, v52
	v_add_f64 v[30:31], v[46:47], v[30:31]
	buffer_load_dword v46, off, s[64:67], 0 offset:220 ; 4-byte Folded Reload
	buffer_load_dword v47, off, s[64:67], 0 offset:224 ; 4-byte Folded Reload
	v_add_f64 v[28:29], v[38:39], v[28:29]
	buffer_load_dword v38, off, s[64:67], 0 offset:316 ; 4-byte Folded Reload
	buffer_load_dword v39, off, s[64:67], 0 offset:320 ; 4-byte Folded Reload
	s_waitcnt vmcnt(8)
	v_add_f64 v[48:49], v[159:160], -v[48:49]
	s_waitcnt vmcnt(6)
	v_add_f64 v[40:41], v[116:117], -v[40:41]
	s_waitcnt vmcnt(4)
	v_add_f64 v[44:45], v[44:45], v[167:168]
	v_add_f64 v[36:37], v[48:49], v[36:37]
	buffer_load_dword v48, off, s[64:67], 0 offset:244 ; 4-byte Folded Reload
	buffer_load_dword v49, off, s[64:67], 0 offset:248 ; 4-byte Folded Reload
	s_waitcnt vmcnt(4)
	v_add_f64 v[46:47], v[114:115], -v[46:47]
	v_add_f64 v[28:29], v[40:41], v[28:29]
	v_add_f64 v[30:31], v[44:45], v[30:31]
	s_waitcnt vmcnt(2)
	v_add_f64 v[38:39], v[122:123], -v[38:39]
	v_add_f64 v[36:37], v[46:47], v[36:37]
	v_add_f64 v[28:29], v[38:39], v[28:29]
	s_waitcnt vmcnt(0)
	v_add_f64 v[48:49], v[48:49], v[169:170]
	buffer_load_dword v167, off, s[64:67], 0 offset:104 ; 4-byte Folded Reload
	buffer_load_dword v168, off, s[64:67], 0 offset:108 ; 4-byte Folded Reload
	;; [unrolled: 1-line block ×8, first 2 shown]
	v_add_f64 v[48:49], v[48:49], v[30:31]
	s_waitcnt vmcnt(2)
	v_add_f64 v[44:45], v[120:121], -v[44:45]
	s_waitcnt vmcnt(0)
	v_add_f64 v[46:47], v[175:176], -v[40:41]
	buffer_load_dword v40, off, s[64:67], 0 offset:260 ; 4-byte Folded Reload
	buffer_load_dword v41, off, s[64:67], 0 offset:264 ; 4-byte Folded Reload
	;; [unrolled: 1-line block ×4, first 2 shown]
	v_add_f64 v[36:37], v[44:45], v[36:37]
	v_add_f64 v[32:33], v[46:47], v[28:29]
	;; [unrolled: 1-line block ×4, first 2 shown]
	s_waitcnt vmcnt(2)
	v_add_f64 v[40:41], v[40:41], v[173:174]
	s_waitcnt vmcnt(0)
	v_add_f64 v[50:51], v[171:172], -v[30:31]
	v_add_f64 v[30:31], v[8:9], v[42:43]
	v_add_f64 v[42:43], v[0:1], v[74:75]
	buffer_load_dword v0, off, s[64:67], 0 offset:120 ; 4-byte Folded Reload
	v_add_f64 v[74:75], v[78:79], v[6:7]
	v_add_f64 v[38:39], v[40:41], v[48:49]
	;; [unrolled: 1-line block ×4, first 2 shown]
	s_waitcnt vmcnt(0)
	v_add_lshl_u32 v0, v52, v0, 4
	ds_write_b128 v0, v[40:43]
	ds_write_b128 v0, v[36:39] offset:16
	ds_write_b128 v0, v[32:35] offset:32
	ds_write_b128 v0, v[28:31] offset:48
	ds_write_b128 v0, v[96:99] offset:64
	ds_write_b128 v0, v[92:95] offset:80
	ds_write_b128 v0, v[74:77] offset:96
	ds_write_b128 v0, v[80:83] offset:112
	ds_write_b128 v0, v[88:91] offset:128
	ds_write_b128 v0, v[84:87] offset:144
	buffer_load_dword v1, off, s[64:67], 0 offset:84 ; 4-byte Folded Reload
	buffer_load_dword v2, off, s[64:67], 0 offset:88 ; 4-byte Folded Reload
	buffer_load_dword v3, off, s[64:67], 0 offset:92 ; 4-byte Folded Reload
	buffer_load_dword v4, off, s[64:67], 0 offset:96 ; 4-byte Folded Reload
	s_waitcnt vmcnt(0)
	ds_write_b128 v0, v[1:4] offset:160
	buffer_load_dword v1, off, s[64:67], 0 offset:68 ; 4-byte Folded Reload
	buffer_load_dword v2, off, s[64:67], 0 offset:72 ; 4-byte Folded Reload
	buffer_load_dword v3, off, s[64:67], 0 offset:76 ; 4-byte Folded Reload
	buffer_load_dword v4, off, s[64:67], 0 offset:80 ; 4-byte Folded Reload
	s_waitcnt vmcnt(0)
	ds_write_b128 v0, v[1:4] offset:176
	buffer_load_dword v1, off, s[64:67], 0 offset:52 ; 4-byte Folded Reload
	buffer_load_dword v2, off, s[64:67], 0 offset:56 ; 4-byte Folded Reload
	buffer_load_dword v3, off, s[64:67], 0 offset:60 ; 4-byte Folded Reload
	buffer_load_dword v4, off, s[64:67], 0 offset:64 ; 4-byte Folded Reload
	s_waitcnt vmcnt(0)
	ds_write_b128 v0, v[1:4] offset:192
	buffer_load_dword v1, off, s[64:67], 0 offset:36 ; 4-byte Folded Reload
	buffer_load_dword v2, off, s[64:67], 0 offset:40 ; 4-byte Folded Reload
	buffer_load_dword v3, off, s[64:67], 0 offset:44 ; 4-byte Folded Reload
	buffer_load_dword v4, off, s[64:67], 0 offset:48 ; 4-byte Folded Reload
	s_waitcnt vmcnt(0)
	ds_write_b128 v0, v[1:4] offset:208
	buffer_load_dword v1, off, s[64:67], 0 offset:20 ; 4-byte Folded Reload
	buffer_load_dword v2, off, s[64:67], 0 offset:24 ; 4-byte Folded Reload
	buffer_load_dword v3, off, s[64:67], 0 offset:28 ; 4-byte Folded Reload
	buffer_load_dword v4, off, s[64:67], 0 offset:32 ; 4-byte Folded Reload
	s_waitcnt vmcnt(0)
	ds_write_b128 v0, v[1:4] offset:224
	buffer_load_dword v1, off, s[64:67], 0 offset:4 ; 4-byte Folded Reload
	buffer_load_dword v2, off, s[64:67], 0 offset:8 ; 4-byte Folded Reload
	buffer_load_dword v3, off, s[64:67], 0 offset:12 ; 4-byte Folded Reload
	buffer_load_dword v4, off, s[64:67], 0 offset:16 ; 4-byte Folded Reload
	s_waitcnt vmcnt(0)
	ds_write_b128 v0, v[1:4] offset:240
	ds_write_b128 v0, v[167:170] offset:256
.LBB0_7:
	s_or_b64 exec, exec, s[34:35]
	v_mov_b32_e32 v0, s8
	s_movk_i32 s4, 0x90
	v_mov_b32_e32 v1, s9
	v_mad_u64_u32 v[0:1], s[4:5], v163, s4, v[0:1]
	s_load_dwordx4 s[0:3], s[0:1], 0x0
	s_waitcnt vmcnt(0) lgkmcnt(0)
	s_barrier
	global_load_dwordx4 v[44:47], v[0:1], off
	global_load_dwordx4 v[36:39], v[0:1], off offset:16
	global_load_dwordx4 v[32:35], v[0:1], off offset:32
	;; [unrolled: 1-line block ×8, first 2 shown]
	s_mov_b32 s4, 0x134454ff
	buffer_load_dword v0, off, s[64:67], 0  ; 4-byte Folded Reload
	s_mov_b32 s5, 0x3fee6f0e
	s_mov_b32 s15, 0xbfee6f0e
	;; [unrolled: 1-line block ×11, first 2 shown]
	s_waitcnt vmcnt(0)
	v_add_lshl_u32 v1, v0, v163, 4
	ds_read_b128 v[64:67], v1
	ds_read_b128 v[68:71], v1 offset:272
	ds_read_b128 v[72:75], v1 offset:544
	;; [unrolled: 1-line block ×9, first 2 shown]
	s_waitcnt lgkmcnt(8)
	v_mul_f64 v[2:3], v[70:71], v[46:47]
	v_mul_f64 v[4:5], v[68:69], v[46:47]
	s_waitcnt lgkmcnt(7)
	v_mul_f64 v[6:7], v[74:75], v[38:39]
	s_waitcnt lgkmcnt(6)
	;; [unrolled: 2-line block ×5, first 2 shown]
	v_mul_f64 v[122:123], v[98:99], v[54:55]
	v_mul_f64 v[8:9], v[72:73], v[38:39]
	;; [unrolled: 1-line block ×8, first 2 shown]
	v_fma_f64 v[2:3], v[68:69], v[44:45], -v[2:3]
	v_fma_f64 v[4:5], v[70:71], v[44:45], v[4:5]
	v_fma_f64 v[6:7], v[72:73], v[36:37], -v[6:7]
	v_fma_f64 v[68:69], v[78:79], v[32:33], v[104:105]
	v_fma_f64 v[70:71], v[80:81], v[183:184], -v[106:107]
	v_fma_f64 v[78:79], v[88:89], v[48:49], -v[114:115]
	;; [unrolled: 1-line block ×3, first 2 shown]
	v_mul_f64 v[110:111], v[86:87], v[58:59]
	v_mul_f64 v[118:119], v[94:95], v[42:43]
	s_waitcnt lgkmcnt(0)
	v_mul_f64 v[126:127], v[102:103], v[62:63]
	v_mul_f64 v[128:129], v[100:101], v[62:63]
	v_fma_f64 v[8:9], v[74:75], v[36:37], v[8:9]
	v_fma_f64 v[10:11], v[76:77], v[32:33], -v[10:11]
	v_fma_f64 v[72:73], v[82:83], v[183:184], v[108:109]
	v_fma_f64 v[76:77], v[86:87], v[56:57], v[112:113]
	;; [unrolled: 1-line block ×5, first 2 shown]
	v_add_f64 v[94:95], v[64:65], v[6:7]
	v_add_f64 v[96:97], v[70:71], v[78:79]
	;; [unrolled: 1-line block ×3, first 2 shown]
	v_fma_f64 v[74:75], v[84:85], v[56:57], -v[110:111]
	v_fma_f64 v[84:85], v[92:93], v[40:41], -v[118:119]
	;; [unrolled: 1-line block ×3, first 2 shown]
	v_fma_f64 v[92:93], v[102:103], v[60:61], v[128:129]
	v_add_f64 v[98:99], v[8:9], -v[82:83]
	v_add_f64 v[100:101], v[72:73], -v[80:81]
	;; [unrolled: 1-line block ×5, first 2 shown]
	v_add_f64 v[112:113], v[66:67], v[8:9]
	v_add_f64 v[114:115], v[72:73], v[80:81]
	v_add_f64 v[116:117], v[70:71], -v[78:79]
	v_add_f64 v[122:123], v[8:9], v[82:83]
	v_add_f64 v[70:71], v[94:95], v[70:71]
	v_fma_f64 v[94:95], v[96:97], -0.5, v[64:65]
	v_fma_f64 v[64:65], v[106:107], -0.5, v[64:65]
	v_add_f64 v[110:111], v[78:79], -v[88:89]
	v_add_f64 v[6:7], v[6:7], -v[88:89]
	;; [unrolled: 1-line block ×4, first 2 shown]
	v_add_f64 v[126:127], v[2:3], v[10:11]
	v_add_f64 v[96:97], v[102:103], v[104:105]
	;; [unrolled: 1-line block ×3, first 2 shown]
	v_fma_f64 v[104:105], v[114:115], -0.5, v[66:67]
	v_fma_f64 v[66:67], v[122:123], -0.5, v[66:67]
	v_add_f64 v[70:71], v[70:71], v[78:79]
	v_fma_f64 v[78:79], v[98:99], s[4:5], v[94:95]
	v_fma_f64 v[94:95], v[98:99], s[14:15], v[94:95]
	;; [unrolled: 1-line block ×4, first 2 shown]
	v_add_f64 v[120:121], v[82:83], -v[80:81]
	v_add_f64 v[124:125], v[80:81], -v[82:83]
	v_add_f64 v[102:103], v[108:109], v[110:111]
	v_add_f64 v[108:109], v[126:127], v[74:75]
	;; [unrolled: 1-line block ×3, first 2 shown]
	v_fma_f64 v[80:81], v[6:7], s[14:15], v[104:105]
	v_fma_f64 v[104:105], v[6:7], s[4:5], v[104:105]
	;; [unrolled: 1-line block ×8, first 2 shown]
	v_add_f64 v[128:129], v[74:75], v[84:85]
	v_add_f64 v[88:89], v[70:71], v[88:89]
	v_fma_f64 v[70:71], v[116:117], s[8:9], v[104:105]
	v_add_f64 v[8:9], v[8:9], v[124:125]
	v_fma_f64 v[104:105], v[96:97], s[10:11], v[78:79]
	v_fma_f64 v[94:95], v[96:97], s[10:11], v[94:95]
	;; [unrolled: 1-line block ×6, first 2 shown]
	v_add_f64 v[66:67], v[108:109], v[84:85]
	v_add_f64 v[78:79], v[76:77], v[86:87]
	v_add_f64 v[130:131], v[68:69], -v[92:93]
	v_add_f64 v[138:139], v[10:11], v[90:91]
	v_fma_f64 v[110:111], v[128:129], -0.5, v[2:3]
	v_add_f64 v[98:99], v[72:73], v[82:83]
	v_fma_f64 v[108:109], v[8:9], s[10:11], v[64:65]
	v_fma_f64 v[6:7], v[8:9], s[10:11], v[6:7]
	v_add_f64 v[8:9], v[66:67], v[90:91]
	v_add_f64 v[66:67], v[68:69], v[92:93]
	v_fma_f64 v[78:79], v[78:79], -0.5, v[4:5]
	v_add_f64 v[82:83], v[10:11], -v[90:91]
	v_add_f64 v[132:133], v[76:77], -v[86:87]
	;; [unrolled: 1-line block ×4, first 2 shown]
	v_add_f64 v[106:107], v[118:119], v[120:121]
	v_fma_f64 v[118:119], v[130:131], s[4:5], v[110:111]
	v_fma_f64 v[80:81], v[116:117], s[16:17], v[80:81]
	v_fma_f64 v[2:3], v[138:139], -0.5, v[2:3]
	v_fma_f64 v[64:65], v[130:131], s[14:15], v[110:111]
	v_add_f64 v[110:111], v[4:5], v[68:69]
	v_add_f64 v[112:113], v[74:75], -v[84:85]
	v_fma_f64 v[4:5], v[66:67], -0.5, v[4:5]
	v_add_f64 v[10:11], v[74:75], -v[10:11]
	v_add_f64 v[66:67], v[84:85], -v[90:91]
	v_fma_f64 v[74:75], v[82:83], s[14:15], v[78:79]
	v_add_f64 v[84:85], v[68:69], -v[76:77]
	v_add_f64 v[90:91], v[92:93], -v[86:87]
	v_fma_f64 v[102:103], v[106:107], s[10:11], v[80:81]
	v_fma_f64 v[80:81], v[132:133], s[14:15], v[2:3]
	;; [unrolled: 1-line block ×3, first 2 shown]
	v_add_f64 v[110:111], v[110:111], v[76:77]
	v_fma_f64 v[114:115], v[112:113], s[4:5], v[4:5]
	v_add_f64 v[68:69], v[76:77], -v[68:69]
	v_add_f64 v[76:77], v[86:87], -v[92:93]
	v_fma_f64 v[74:75], v[112:113], s[16:17], v[74:75]
	v_fma_f64 v[78:79], v[82:83], s[4:5], v[78:79]
	v_add_f64 v[84:85], v[84:85], v[90:91]
	v_fma_f64 v[4:5], v[112:113], s[14:15], v[4:5]
	v_fma_f64 v[106:107], v[106:107], s[10:11], v[70:71]
	;; [unrolled: 1-line block ×3, first 2 shown]
	v_add_f64 v[72:73], v[134:135], v[136:137]
	v_fma_f64 v[64:65], v[132:133], s[16:17], v[64:65]
	v_fma_f64 v[80:81], v[130:131], s[8:9], v[80:81]
	v_add_f64 v[10:11], v[10:11], v[66:67]
	v_fma_f64 v[2:3], v[130:131], s[16:17], v[2:3]
	v_fma_f64 v[66:67], v[82:83], s[16:17], v[114:115]
	v_add_f64 v[68:69], v[68:69], v[76:77]
	v_add_f64 v[76:77], v[110:111], v[86:87]
	v_fma_f64 v[78:79], v[112:113], s[8:9], v[78:79]
	v_fma_f64 v[74:75], v[84:85], s[10:11], v[74:75]
	;; [unrolled: 1-line block ×8, first 2 shown]
	v_add_f64 v[86:87], v[76:77], v[92:93]
	v_fma_f64 v[66:67], v[84:85], s[10:11], v[78:79]
	v_mul_f64 v[76:77], v[74:75], s[8:9]
	v_fma_f64 v[4:5], v[68:69], s[10:11], v[4:5]
	v_mul_f64 v[82:83], v[72:73], s[18:19]
	v_add_f64 v[64:65], v[88:89], v[8:9]
	v_mul_f64 v[78:79], v[2:3], s[10:11]
	v_mul_f64 v[68:69], v[10:11], s[4:5]
	v_lshl_add_u32 v0, v163, 4, v164
	v_mul_f64 v[92:93], v[66:67], s[18:19]
	v_fma_f64 v[90:91], v[70:71], s[18:19], v[76:77]
	v_mul_f64 v[70:71], v[70:71], s[16:17]
	v_mul_f64 v[76:77], v[80:81], s[14:15]
	;; [unrolled: 1-line block ×3, first 2 shown]
	v_fma_f64 v[4:5], v[4:5], s[4:5], -v[78:79]
	v_fma_f64 v[110:111], v[80:81], s[10:11], v[68:69]
	v_fma_f64 v[112:113], v[66:67], s[8:9], -v[82:83]
	v_fma_f64 v[116:117], v[72:73], s[16:17], -v[92:93]
	v_add_f64 v[68:69], v[104:105], v[90:91]
	v_fma_f64 v[114:115], v[74:75], s[18:19], v[70:71]
	v_fma_f64 v[10:11], v[10:11], s[10:11], v[76:77]
	v_fma_f64 v[2:3], v[2:3], s[14:15], -v[84:85]
	v_add_f64 v[76:77], v[100:101], v[4:5]
	v_add_f64 v[72:73], v[96:97], v[110:111]
	v_add_f64 v[80:81], v[94:95], v[112:113]
	v_add_f64 v[66:67], v[98:99], v[86:87]
	v_add_f64 v[82:83], v[106:107], v[116:117]
	v_add_f64 v[70:71], v[102:103], v[114:115]
	v_add_f64 v[74:75], v[108:109], v[10:11]
	v_add_f64 v[78:79], v[6:7], v[2:3]
	v_add_f64 v[84:85], v[88:89], -v[8:9]
	v_add_f64 v[88:89], v[104:105], -v[90:91]
	;; [unrolled: 1-line block ×10, first 2 shown]
	ds_write_b128 v0, v[64:67]
	ds_write_b128 v0, v[68:71] offset:272
	ds_write_b128 v0, v[72:75] offset:544
	ds_write_b128 v0, v[76:79] offset:816
	ds_write_b128 v0, v[80:83] offset:1088
	ds_write_b128 v0, v[84:87] offset:1360
	ds_write_b128 v0, v[88:91] offset:1632
	ds_write_b128 v0, v[92:95] offset:1904
	ds_write_b128 v0, v[96:99] offset:2176
	ds_write_b128 v0, v[100:103] offset:2448
	s_waitcnt lgkmcnt(0)
	s_barrier
	s_and_saveexec_b64 s[4:5], vcc
	s_cbranch_execz .LBB0_9
; %bb.8:
	global_load_dwordx4 v[108:111], v255, s[6:7] offset:2720
	ds_read_b128 v[104:107], v0
	s_add_u32 s8, s6, 0xaa0
	s_addc_u32 s9, s7, 0
	s_waitcnt vmcnt(0) lgkmcnt(0)
	v_mul_f64 v[2:3], v[106:107], v[110:111]
	v_fma_f64 v[112:113], v[104:105], v[108:109], -v[2:3]
	v_mul_f64 v[2:3], v[104:105], v[110:111]
	v_fma_f64 v[114:115], v[106:107], v[108:109], v[2:3]
	global_load_dwordx4 v[108:111], v255, s[8:9] offset:160
	ds_read_b128 v[104:107], v0 offset:160
	ds_write_b128 v0, v[112:115]
	s_waitcnt vmcnt(0) lgkmcnt(1)
	v_mul_f64 v[2:3], v[106:107], v[110:111]
	v_fma_f64 v[112:113], v[104:105], v[108:109], -v[2:3]
	v_mul_f64 v[2:3], v[104:105], v[110:111]
	v_fma_f64 v[114:115], v[106:107], v[108:109], v[2:3]
	global_load_dwordx4 v[108:111], v255, s[8:9] offset:320
	ds_read_b128 v[104:107], v0 offset:320
	ds_write_b128 v0, v[112:115] offset:160
	s_waitcnt vmcnt(0) lgkmcnt(1)
	v_mul_f64 v[2:3], v[106:107], v[110:111]
	v_fma_f64 v[112:113], v[104:105], v[108:109], -v[2:3]
	v_mul_f64 v[2:3], v[104:105], v[110:111]
	v_fma_f64 v[114:115], v[106:107], v[108:109], v[2:3]
	global_load_dwordx4 v[108:111], v255, s[8:9] offset:480
	ds_read_b128 v[104:107], v0 offset:480
	ds_write_b128 v0, v[112:115] offset:320
	;; [unrolled: 8-line block ×15, first 2 shown]
	s_waitcnt vmcnt(0) lgkmcnt(1)
	v_mul_f64 v[2:3], v[106:107], v[110:111]
	v_fma_f64 v[112:113], v[104:105], v[108:109], -v[2:3]
	v_mul_f64 v[2:3], v[104:105], v[110:111]
	v_fma_f64 v[114:115], v[106:107], v[108:109], v[2:3]
	ds_write_b128 v0, v[112:115] offset:2560
.LBB0_9:
	s_or_b64 exec, exec, s[4:5]
	s_waitcnt lgkmcnt(0)
	s_barrier
	s_and_saveexec_b64 s[4:5], vcc
	s_cbranch_execz .LBB0_11
; %bb.10:
	ds_read_b128 v[64:67], v0
	ds_read_b128 v[68:71], v0 offset:160
	ds_read_b128 v[72:75], v0 offset:320
	;; [unrolled: 1-line block ×10, first 2 shown]
	s_waitcnt lgkmcnt(0)
	buffer_store_dword v2, off, s[64:67], 0 offset:84 ; 4-byte Folded Spill
	s_nop 0
	buffer_store_dword v3, off, s[64:67], 0 offset:88 ; 4-byte Folded Spill
	buffer_store_dword v4, off, s[64:67], 0 offset:92 ; 4-byte Folded Spill
	buffer_store_dword v5, off, s[64:67], 0 offset:96 ; 4-byte Folded Spill
	ds_read_b128 v[2:5], v0 offset:1760
	s_waitcnt lgkmcnt(0)
	buffer_store_dword v2, off, s[64:67], 0 offset:68 ; 4-byte Folded Spill
	s_nop 0
	buffer_store_dword v3, off, s[64:67], 0 offset:72 ; 4-byte Folded Spill
	buffer_store_dword v4, off, s[64:67], 0 offset:76 ; 4-byte Folded Spill
	buffer_store_dword v5, off, s[64:67], 0 offset:80 ; 4-byte Folded Spill
	ds_read_b128 v[2:5], v0 offset:1920
	;; [unrolled: 7-line block ×6, first 2 shown]
.LBB0_11:
	s_or_b64 exec, exec, s[4:5]
	s_waitcnt vmcnt(0) lgkmcnt(0)
	s_barrier
	s_and_saveexec_b64 s[4:5], vcc
	s_cbranch_execz .LBB0_13
; %bb.12:
	buffer_load_dword v24, off, s[64:67], 0 offset:84 ; 4-byte Folded Reload
	buffer_load_dword v25, off, s[64:67], 0 offset:88 ; 4-byte Folded Reload
	buffer_load_dword v26, off, s[64:67], 0 offset:92 ; 4-byte Folded Reload
	buffer_load_dword v27, off, s[64:67], 0 offset:96 ; 4-byte Folded Reload
	buffer_load_dword v20, off, s[64:67], 0 offset:68 ; 4-byte Folded Reload
	buffer_load_dword v21, off, s[64:67], 0 offset:72 ; 4-byte Folded Reload
	buffer_load_dword v22, off, s[64:67], 0 offset:76 ; 4-byte Folded Reload
	buffer_load_dword v23, off, s[64:67], 0 offset:80 ; 4-byte Folded Reload
	v_mov_b32_e32 v114, v167
	buffer_store_dword v164, off, s[64:67], 0 ; 4-byte Folded Spill
	buffer_load_dword v16, off, s[64:67], 0 offset:52 ; 4-byte Folded Reload
	buffer_load_dword v17, off, s[64:67], 0 offset:56 ; 4-byte Folded Reload
	;; [unrolled: 1-line block ×16, first 2 shown]
	v_mov_b32_e32 v116, v169
	v_mov_b32_e32 v117, v170
	v_mov_b32_e32 v115, v168
	v_mov_b32_e32 v119, v117
	v_mov_b32_e32 v118, v116
	v_mov_b32_e32 v117, v115
	v_mov_b32_e32 v116, v114
	buffer_store_dword v116, off, s[64:67], 0 offset:104 ; 4-byte Folded Spill
	s_nop 0
	buffer_store_dword v117, off, s[64:67], 0 offset:108 ; 4-byte Folded Spill
	buffer_store_dword v118, off, s[64:67], 0 offset:112 ; 4-byte Folded Spill
	;; [unrolled: 1-line block ×3, first 2 shown]
	v_add_f64 v[4:5], v[96:97], -v[100:101]
	v_add_f64 v[203:204], v[68:69], -v[167:168]
	s_mov_b32 s50, 0xeb564b22
	s_mov_b32 s10, 0x923c349f
	s_mov_b32 s18, 0xacd6c6b4
	s_mov_b32 s51, 0x3fefdd0d
	s_mov_b32 s11, 0xbfeec746
	s_mov_b32 s19, 0xbfc7851a
	v_mov_b32_e32 v242, v5
	v_mul_f64 v[2:3], v[4:5], s[50:51]
	v_mov_b32_e32 v241, v4
	v_add_f64 v[157:158], v[70:71], v[169:170]
	s_mov_b32 s38, 0x5d8e7cdc
	s_mov_b32 s14, 0x7faef3
	;; [unrolled: 1-line block ×22, first 2 shown]
	v_add_f64 v[189:190], v[98:99], -v[102:103]
	s_mov_b32 s30, 0xc61f0d01
	s_mov_b32 s31, 0xbfd183b1
	v_add_f64 v[141:142], v[98:99], v[102:103]
	v_add_f64 v[187:188], v[96:97], v[100:101]
	s_mov_b32 s8, 0x3259b75e
	s_mov_b32 s9, 0x3fb79ee6
	;; [unrolled: 1-line block ×16, first 2 shown]
	v_mov_b32_e32 v252, v242
	v_mov_b32_e32 v251, v241
	s_waitcnt vmcnt(27)
	v_add_f64 v[6:7], v[92:93], -v[24:25]
	s_waitcnt vmcnt(23)
	v_add_f64 v[253:254], v[88:89], -v[20:21]
	s_waitcnt vmcnt(21)
	v_add_f64 v[147:148], v[90:91], v[22:23]
	v_add_f64 v[199:200], v[90:91], -v[22:23]
	s_waitcnt vmcnt(18)
	v_add_f64 v[163:164], v[84:85], -v[16:17]
	s_waitcnt vmcnt(14)
	;; [unrolled: 2-line block ×4, first 2 shown]
	v_add_f64 v[167:168], v[76:77], -v[175:176]
	v_mov_b32_e32 v240, v7
	v_mul_f64 v[4:5], v[6:7], s[10:11]
	v_mov_b32_e32 v239, v6
	v_mul_f64 v[6:7], v[203:204], s[18:19]
	v_add_f64 v[153:154], v[74:75], v[30:31]
	s_waitcnt vmcnt(4)
	v_add_f64 v[155:156], v[78:79], v[177:178]
	v_mul_f64 v[8:9], v[201:202], s[38:39]
	v_mul_f64 v[104:105], v[167:168], s[24:25]
	;; [unrolled: 1-line block ×3, first 2 shown]
	v_add_f64 v[151:152], v[82:83], v[14:15]
	v_add_f64 v[149:150], v[86:87], v[18:19]
	v_fma_f64 v[10:11], v[157:158], s[14:15], v[6:7]
	v_add_f64 v[118:119], v[70:71], -v[118:119]
	v_add_f64 v[159:160], v[74:75], -v[30:31]
	v_fma_f64 v[106:107], v[153:154], s[20:21], v[8:9]
	v_fma_f64 v[110:111], v[155:156], s[16:17], v[104:105]
	v_add_f64 v[173:174], v[68:69], v[116:117]
	v_fma_f64 v[112:113], v[151:152], s[22:23], v[108:109]
	v_add_f64 v[179:180], v[78:79], -v[177:178]
	v_add_f64 v[10:11], v[66:67], v[10:11]
	v_mov_b32_e32 v131, v119
	v_mov_b32_e32 v130, v118
	v_add_f64 v[171:172], v[72:73], v[28:29]
	v_add_f64 v[143:144], v[82:83], -v[14:15]
	v_add_f64 v[169:170], v[76:77], v[175:176]
	v_add_f64 v[145:146], v[86:87], -v[18:19]
	v_fma_f64 v[6:7], v[157:158], s[14:15], -v[6:7]
	v_add_f64 v[10:11], v[106:107], v[10:11]
	v_mul_f64 v[106:107], v[163:164], s[28:29]
	v_add_f64 v[181:182], v[80:81], v[12:13]
	v_fma_f64 v[8:9], v[153:154], s[20:21], -v[8:9]
	v_mul_f64 v[124:125], v[143:144], s[46:47]
	v_add_f64 v[197:198], v[84:85], v[16:17]
	v_add_f64 v[193:194], v[94:95], -v[26:27]
	v_add_f64 v[6:7], v[66:67], v[6:7]
	v_add_f64 v[10:11], v[110:111], v[10:11]
	v_mul_f64 v[110:111], v[253:254], s[42:43]
	v_fma_f64 v[114:115], v[149:150], s[26:27], v[106:107]
	v_fma_f64 v[104:105], v[155:156], s[16:17], -v[104:105]
	v_fma_f64 v[128:129], v[181:182], s[22:23], -v[124:125]
	v_add_f64 v[195:196], v[88:89], v[20:21]
	v_add_f64 v[161:162], v[94:95], v[26:27]
	;; [unrolled: 1-line block ×4, first 2 shown]
	v_mul_f64 v[112:113], v[118:119], s[18:19]
	v_fma_f64 v[116:117], v[147:148], s[34:35], v[110:111]
	v_mul_f64 v[8:9], v[199:200], s[42:43]
	v_fma_f64 v[108:109], v[151:152], s[22:23], -v[108:109]
	v_add_f64 v[191:192], v[92:93], v[24:25]
	v_fma_f64 v[120:121], v[161:162], s[30:31], v[4:5]
	v_add_f64 v[6:7], v[104:105], v[6:7]
	v_add_f64 v[10:11], v[114:115], v[10:11]
	v_mul_f64 v[114:115], v[159:160], s[38:39]
	v_fma_f64 v[118:119], v[173:174], s[14:15], -v[112:113]
	v_fma_f64 v[112:113], v[173:174], s[14:15], v[112:113]
	v_fma_f64 v[104:105], v[195:196], s[34:35], -v[8:9]
	v_fma_f64 v[106:107], v[149:150], s[26:27], -v[106:107]
	v_fma_f64 v[124:125], v[181:182], s[22:23], v[124:125]
	v_add_f64 v[6:7], v[108:109], v[6:7]
	v_add_f64 v[10:11], v[116:117], v[10:11]
	v_mul_f64 v[116:117], v[179:180], s[24:25]
	v_fma_f64 v[122:123], v[171:172], s[20:21], -v[114:115]
	v_add_f64 v[118:119], v[64:65], v[118:119]
	v_fma_f64 v[114:115], v[171:172], s[20:21], v[114:115]
	v_add_f64 v[112:113], v[64:65], v[112:113]
	v_mul_f64 v[108:109], v[189:190], s[50:51]
	v_add_f64 v[6:7], v[106:107], v[6:7]
	v_fma_f64 v[106:107], v[141:142], s[8:9], v[2:3]
	v_fma_f64 v[126:127], v[169:170], s[16:17], -v[116:117]
	v_fma_f64 v[116:117], v[169:170], s[16:17], v[116:117]
	v_add_f64 v[118:119], v[122:123], v[118:119]
	v_mul_f64 v[122:123], v[145:146], s[28:29]
	v_add_f64 v[112:113], v[114:115], v[112:113]
	v_mul_f64 v[114:115], v[193:194], s[10:11]
	v_add_f64 v[10:11], v[120:121], v[10:11]
	v_fma_f64 v[120:121], v[187:188], s[8:9], -v[108:109]
	v_mul_f64 v[134:135], v[167:168], s[40:41]
	v_mul_f64 v[138:139], v[179:180], s[40:41]
	v_add_f64 v[118:119], v[126:127], v[118:119]
	v_fma_f64 v[126:127], v[197:198], s[26:27], -v[122:123]
	v_add_f64 v[112:113], v[116:117], v[112:113]
	v_fma_f64 v[116:117], v[191:192], s[30:31], -v[114:115]
	v_add_f64 v[106:107], v[106:107], v[10:11]
	v_fma_f64 v[10:11], v[191:192], s[30:31], v[114:115]
	v_mul_f64 v[114:115], v[203:204], s[24:25]
	v_fma_f64 v[8:9], v[195:196], s[34:35], v[8:9]
	v_add_f64 v[118:119], v[128:129], v[118:119]
	v_mul_f64 v[128:129], v[165:166], s[54:55]
	v_add_f64 v[112:113], v[124:125], v[112:113]
	v_mul_f64 v[124:125], v[201:202], s[42:43]
	v_fma_f64 v[209:210], v[155:156], s[8:9], v[134:135]
	v_fma_f64 v[211:212], v[169:170], s[8:9], -v[138:139]
	v_fma_f64 v[110:111], v[147:148], s[34:35], -v[110:111]
	v_fma_f64 v[134:135], v[155:156], s[8:9], -v[134:135]
	v_add_f64 v[118:119], v[126:127], v[118:119]
	v_fma_f64 v[126:127], v[157:158], s[16:17], v[114:115]
	v_fma_f64 v[114:115], v[157:158], s[16:17], -v[114:115]
	v_fma_f64 v[136:137], v[153:154], s[34:35], v[124:125]
	v_fma_f64 v[124:125], v[153:154], s[34:35], -v[124:125]
	;; [unrolled: 2-line block ×3, first 2 shown]
	v_add_f64 v[6:7], v[110:111], v[6:7]
	v_add_f64 v[104:105], v[104:105], v[118:119]
	v_fma_f64 v[118:119], v[197:198], s[26:27], v[122:123]
	v_add_f64 v[126:127], v[66:67], v[126:127]
	v_add_f64 v[114:115], v[66:67], v[114:115]
	v_mul_f64 v[110:111], v[253:254], s[18:19]
	v_fma_f64 v[128:129], v[151:152], s[26:27], -v[128:129]
	v_fma_f64 v[2:3], v[141:142], s[8:9], -v[2:3]
	v_add_f64 v[4:5], v[4:5], v[6:7]
	v_add_f64 v[104:105], v[116:117], v[104:105]
	v_add_f64 v[112:113], v[118:119], v[112:113]
	v_add_f64 v[126:127], v[136:137], v[126:127]
	v_mul_f64 v[136:137], v[143:144], s[54:55]
	v_add_f64 v[114:115], v[124:125], v[114:115]
	v_fma_f64 v[124:125], v[169:170], s[8:9], v[138:139]
	v_mul_f64 v[6:7], v[239:240], s[46:47]
	v_fma_f64 v[118:119], v[147:148], s[14:15], v[110:111]
	v_add_f64 v[104:105], v[120:121], v[104:105]
	v_add_f64 v[8:9], v[8:9], v[112:113]
	v_mul_f64 v[112:113], v[163:164], s[36:37]
	buffer_store_dword v104, off, s[64:67], 0 offset:124 ; 4-byte Folded Spill
	s_nop 0
	buffer_store_dword v105, off, s[64:67], 0 offset:128 ; 4-byte Folded Spill
	buffer_store_dword v106, off, s[64:67], 0 offset:132 ; 4-byte Folded Spill
	;; [unrolled: 1-line block ×3, first 2 shown]
	v_mov_b32_e32 v104, v130
	v_mov_b32_e32 v105, v131
	v_mul_f64 v[120:121], v[104:105], s[24:25]
	v_mul_f64 v[130:131], v[159:160], s[42:43]
	v_add_f64 v[126:127], v[209:210], v[126:127]
	v_fma_f64 v[209:210], v[181:182], s[26:27], -v[136:137]
	v_fma_f64 v[122:123], v[149:150], s[20:21], v[112:113]
	v_add_f64 v[114:115], v[134:135], v[114:115]
	v_fma_f64 v[134:135], v[181:182], s[26:27], v[136:137]
	v_fma_f64 v[112:113], v[149:150], s[20:21], -v[112:113]
	v_fma_f64 v[132:133], v[173:174], s[16:17], -v[120:121]
	;; [unrolled: 1-line block ×3, first 2 shown]
	v_fma_f64 v[120:121], v[173:174], s[16:17], v[120:121]
	v_fma_f64 v[130:131], v[171:172], s[34:35], v[130:131]
	v_add_f64 v[126:127], v[207:208], v[126:127]
	v_add_f64 v[114:115], v[128:129], v[114:115]
	;; [unrolled: 1-line block ×3, first 2 shown]
	v_mul_f64 v[10:11], v[241:242], s[10:11]
	v_add_f64 v[132:133], v[64:65], v[132:133]
	v_fma_f64 v[116:117], v[161:162], s[22:23], v[6:7]
	v_add_f64 v[120:121], v[64:65], v[120:121]
	v_fma_f64 v[108:109], v[187:188], s[8:9], v[108:109]
	v_add_f64 v[122:123], v[122:123], v[126:127]
	v_add_f64 v[112:113], v[112:113], v[114:115]
	v_fma_f64 v[110:111], v[147:148], s[14:15], -v[110:111]
	v_fma_f64 v[6:7], v[161:162], s[22:23], -v[6:7]
	v_add_f64 v[132:133], v[205:206], v[132:133]
	v_mul_f64 v[205:206], v[145:146], s[36:37]
	v_add_f64 v[120:121], v[130:131], v[120:121]
	v_mul_f64 v[130:131], v[199:200], s[18:19]
	;; [unrolled: 2-line block ×3, first 2 shown]
	v_mul_f64 v[213:214], v[165:166], s[24:25]
	v_mul_f64 v[221:222], v[145:146], s[18:19]
	v_add_f64 v[132:133], v[211:212], v[132:133]
	v_fma_f64 v[138:139], v[197:198], s[20:21], -v[205:206]
	v_add_f64 v[120:121], v[124:125], v[120:121]
	v_mul_f64 v[124:125], v[193:194], s[46:47]
	v_fma_f64 v[126:127], v[195:196], s[14:15], -v[130:131]
	v_fma_f64 v[128:129], v[197:198], s[20:21], v[205:206]
	v_fma_f64 v[114:115], v[195:196], s[14:15], v[130:131]
	v_add_f64 v[116:117], v[116:117], v[118:119]
	v_add_f64 v[132:133], v[209:210], v[132:133]
	v_fma_f64 v[118:119], v[187:188], s[30:31], -v[122:123]
	v_add_f64 v[120:121], v[134:135], v[120:121]
	v_fma_f64 v[134:135], v[191:192], s[22:23], -v[124:125]
	v_fma_f64 v[124:125], v[191:192], s[22:23], v[124:125]
	v_add_f64 v[130:131], v[110:111], v[112:113]
	v_add_f64 v[112:113], v[108:109], v[8:9]
	v_mul_f64 v[205:206], v[167:168], s[36:37]
	v_add_f64 v[132:133], v[138:139], v[132:133]
	v_mul_f64 v[209:210], v[179:180], s[36:37]
	v_add_f64 v[120:121], v[128:129], v[120:121]
	v_fma_f64 v[128:129], v[141:142], s[30:31], v[10:11]
	v_mov_b32_e32 v109, v105
	v_mov_b32_e32 v108, v104
	v_fma_f64 v[225:226], v[197:198], s[14:15], -v[221:222]
	v_fma_f64 v[215:216], v[155:156], s[20:21], v[205:206]
	v_add_f64 v[126:127], v[126:127], v[132:133]
	v_fma_f64 v[217:218], v[169:170], s[20:21], -v[209:210]
	v_add_f64 v[120:121], v[114:115], v[120:121]
	v_add_f64 v[114:115], v[2:3], v[4:5]
	;; [unrolled: 1-line block ×3, first 2 shown]
	v_fma_f64 v[205:206], v[155:156], s[20:21], -v[205:206]
	v_fma_f64 v[209:210], v[169:170], s[20:21], v[209:210]
	v_mul_f64 v[116:117], v[239:240], s[18:19]
	v_add_f64 v[126:127], v[134:135], v[126:127]
	v_mul_f64 v[134:135], v[159:160], s[52:53]
	v_add_f64 v[8:9], v[124:125], v[120:121]
	v_mul_f64 v[124:125], v[104:105], s[28:29]
	v_mul_f64 v[120:121], v[253:254], s[44:45]
	v_mul_f64 v[229:230], v[193:194], s[54:55]
	v_mov_b32_e32 v104, v239
	v_fma_f64 v[128:129], v[161:162], s[14:15], v[116:117]
	v_add_f64 v[2:3], v[118:119], v[126:127]
	v_mul_f64 v[118:119], v[203:204], s[28:29]
	v_mul_f64 v[126:127], v[201:202], s[52:53]
	buffer_store_dword v2, off, s[64:67], 0 offset:140 ; 4-byte Folded Spill
	s_nop 0
	buffer_store_dword v3, off, s[64:67], 0 offset:144 ; 4-byte Folded Spill
	buffer_store_dword v4, off, s[64:67], 0 offset:148 ; 4-byte Folded Spill
	;; [unrolled: 1-line block ×3, first 2 shown]
	v_add_f64 v[4:5], v[6:7], v[130:131]
	v_fma_f64 v[130:131], v[157:158], s[26:27], v[118:119]
	v_fma_f64 v[136:137], v[173:174], s[26:27], -v[124:125]
	v_fma_f64 v[207:208], v[153:154], s[30:31], v[126:127]
	v_fma_f64 v[118:119], v[157:158], s[26:27], -v[118:119]
	v_fma_f64 v[211:212], v[171:172], s[30:31], -v[134:135]
	;; [unrolled: 1-line block ×3, first 2 shown]
	v_fma_f64 v[124:125], v[173:174], s[26:27], v[124:125]
	v_fma_f64 v[6:7], v[187:188], s[30:31], v[122:123]
	v_add_f64 v[130:131], v[66:67], v[130:131]
	v_add_f64 v[136:137], v[64:65], v[136:137]
	v_mul_f64 v[122:123], v[163:164], s[50:51]
	v_add_f64 v[118:119], v[66:67], v[118:119]
	v_fma_f64 v[134:135], v[171:172], s[30:31], v[134:135]
	v_fma_f64 v[132:133], v[147:148], s[22:23], v[120:121]
	v_add_f64 v[124:125], v[64:65], v[124:125]
	v_fma_f64 v[2:3], v[141:142], s[30:31], -v[10:11]
	v_add_f64 v[130:131], v[207:208], v[130:131]
	v_mul_f64 v[207:208], v[143:144], s[24:25]
	v_add_f64 v[136:137], v[211:212], v[136:137]
	v_fma_f64 v[211:212], v[151:152], s[16:17], v[213:214]
	v_add_f64 v[118:119], v[126:127], v[118:119]
	v_fma_f64 v[138:139], v[149:150], s[8:9], v[122:123]
	v_fma_f64 v[213:214], v[151:152], s[16:17], -v[213:214]
	v_add_f64 v[124:125], v[134:135], v[124:125]
	v_add_f64 v[126:127], v[215:216], v[130:131]
	v_mul_f64 v[130:131], v[145:146], s[50:51]
	v_fma_f64 v[215:216], v[181:182], s[16:17], -v[207:208]
	v_add_f64 v[136:137], v[217:218], v[136:137]
	v_add_f64 v[118:119], v[205:206], v[118:119]
	v_mul_f64 v[205:206], v[199:200], s[44:45]
	v_fma_f64 v[122:123], v[149:150], s[8:9], -v[122:123]
	v_mul_f64 v[134:135], v[193:194], s[18:19]
	v_add_f64 v[126:127], v[211:212], v[126:127]
	v_fma_f64 v[211:212], v[197:198], s[8:9], -v[130:131]
	v_fma_f64 v[207:208], v[181:182], s[16:17], v[207:208]
	v_add_f64 v[136:137], v[215:216], v[136:137]
	v_add_f64 v[118:119], v[213:214], v[118:119]
	;; [unrolled: 1-line block ×3, first 2 shown]
	v_fma_f64 v[130:131], v[197:198], s[8:9], v[130:131]
	v_mul_f64 v[10:11], v[241:242], s[42:43]
	v_add_f64 v[126:127], v[138:139], v[126:127]
	v_fma_f64 v[138:139], v[195:196], s[22:23], -v[205:206]
	v_fma_f64 v[120:121], v[147:148], s[22:23], -v[120:121]
	v_add_f64 v[136:137], v[211:212], v[136:137]
	v_add_f64 v[118:119], v[122:123], v[118:119]
	v_add_f64 v[124:125], v[207:208], v[124:125]
	v_fma_f64 v[116:117], v[161:162], s[14:15], -v[116:117]
	v_mul_f64 v[209:210], v[179:180], s[46:47]
	v_add_f64 v[122:123], v[132:133], v[126:127]
	v_fma_f64 v[126:127], v[191:192], s[14:15], -v[134:135]
	v_mul_f64 v[132:133], v[189:190], s[42:43]
	v_add_f64 v[136:137], v[138:139], v[136:137]
	v_add_f64 v[118:119], v[120:121], v[118:119]
	;; [unrolled: 1-line block ×3, first 2 shown]
	v_fma_f64 v[138:139], v[141:142], s[34:35], v[10:11]
	v_add_f64 v[120:121], v[6:7], v[8:9]
	v_add_f64 v[128:129], v[128:129], v[122:123]
	;; [unrolled: 1-line block ×3, first 2 shown]
	v_mul_f64 v[4:5], v[203:204], s[10:11]
	v_add_f64 v[126:127], v[126:127], v[136:137]
	v_fma_f64 v[136:137], v[195:196], s[22:23], v[205:206]
	v_fma_f64 v[207:208], v[187:188], s[34:35], -v[132:133]
	v_fma_f64 v[10:11], v[141:142], s[34:35], -v[10:11]
	v_add_f64 v[130:131], v[116:117], v[118:119]
	v_add_f64 v[118:119], v[138:139], v[128:129]
	v_mul_f64 v[8:9], v[201:202], s[56:57]
	v_fma_f64 v[128:129], v[157:158], s[30:31], v[4:5]
	v_fma_f64 v[2:3], v[191:192], s[14:15], v[134:135]
	v_add_f64 v[6:7], v[136:137], v[124:125]
	v_mul_f64 v[124:125], v[108:109], s[10:11]
	v_mul_f64 v[136:137], v[159:160], s[56:57]
	v_add_f64 v[116:117], v[207:208], v[126:127]
	v_add_f64 v[126:127], v[10:11], v[130:131]
	v_mul_f64 v[130:131], v[167:168], s[46:47]
	v_fma_f64 v[134:135], v[153:154], s[16:17], v[8:9]
	v_add_f64 v[128:129], v[66:67], v[128:129]
	v_mul_f64 v[205:206], v[165:166], s[48:49]
	v_fma_f64 v[138:139], v[173:174], s[30:31], -v[124:125]
	v_fma_f64 v[211:212], v[171:172], s[16:17], -v[136:137]
	v_mul_f64 v[217:218], v[143:144], s[48:49]
	v_fma_f64 v[219:220], v[169:170], s[22:23], -v[209:210]
	v_fma_f64 v[207:208], v[155:156], s[22:23], v[130:131]
	v_fma_f64 v[4:5], v[157:158], s[30:31], -v[4:5]
	v_add_f64 v[128:129], v[134:135], v[128:129]
	v_mul_f64 v[213:214], v[163:164], s[18:19]
	v_add_f64 v[138:139], v[64:65], v[138:139]
	v_fma_f64 v[215:216], v[151:152], s[34:35], v[205:206]
	v_fma_f64 v[223:224], v[181:182], s[34:35], -v[217:218]
	v_fma_f64 v[8:9], v[153:154], s[16:17], -v[8:9]
	;; [unrolled: 1-line block ×3, first 2 shown]
	v_add_f64 v[4:5], v[66:67], v[4:5]
	v_add_f64 v[128:129], v[207:208], v[128:129]
	v_mul_f64 v[207:208], v[253:254], s[50:51]
	v_add_f64 v[138:139], v[211:212], v[138:139]
	v_fma_f64 v[211:212], v[149:150], s[14:15], v[213:214]
	v_fma_f64 v[124:125], v[173:174], s[30:31], v[124:125]
	v_fma_f64 v[10:11], v[187:188], s[34:35], v[132:133]
	v_mul_f64 v[132:133], v[239:240], s[36:37]
	v_add_f64 v[4:5], v[8:9], v[4:5]
	v_add_f64 v[128:129], v[215:216], v[128:129]
	v_fma_f64 v[215:216], v[147:148], s[8:9], v[207:208]
	v_add_f64 v[138:139], v[219:220], v[138:139]
	v_mul_f64 v[219:220], v[199:200], s[50:51]
	v_fma_f64 v[205:206], v[151:152], s[34:35], -v[205:206]
	v_fma_f64 v[136:137], v[171:172], s[16:17], v[136:137]
	v_add_f64 v[124:125], v[64:65], v[124:125]
	v_add_f64 v[4:5], v[130:131], v[4:5]
	v_add_f64 v[128:129], v[211:212], v[128:129]
	v_add_f64 v[2:3], v[2:3], v[6:7]
	v_add_f64 v[8:9], v[223:224], v[138:139]
	v_mul_f64 v[138:139], v[193:194], s[36:37]
	v_fma_f64 v[211:212], v[195:196], s[8:9], -v[219:220]
	v_mul_f64 v[6:7], v[241:242], s[28:29]
	v_fma_f64 v[134:135], v[161:162], s[20:21], v[132:133]
	v_fma_f64 v[213:214], v[149:150], s[14:15], -v[213:214]
	v_add_f64 v[128:129], v[215:216], v[128:129]
	v_mul_f64 v[215:216], v[189:190], s[28:29]
	v_add_f64 v[8:9], v[225:226], v[8:9]
	v_fma_f64 v[130:131], v[191:192], s[20:21], -v[138:139]
	v_fma_f64 v[209:210], v[169:170], s[22:23], v[209:210]
	v_add_f64 v[124:125], v[136:137], v[124:125]
	v_add_f64 v[4:5], v[205:206], v[4:5]
	v_fma_f64 v[136:137], v[141:142], s[26:27], v[6:7]
	v_add_f64 v[128:129], v[134:135], v[128:129]
	v_fma_f64 v[134:135], v[187:188], s[26:27], -v[215:216]
	v_add_f64 v[8:9], v[211:212], v[8:9]
	v_fma_f64 v[205:206], v[147:148], s[8:9], -v[207:208]
	v_fma_f64 v[207:208], v[181:182], s[34:35], v[217:218]
	v_add_f64 v[209:210], v[209:210], v[124:125]
	v_add_f64 v[4:5], v[213:214], v[4:5]
	;; [unrolled: 1-line block ×3, first 2 shown]
	v_fma_f64 v[2:3], v[161:162], s[20:21], -v[132:133]
	v_mul_f64 v[132:133], v[203:204], s[40:41]
	v_add_f64 v[8:9], v[130:131], v[8:9]
	v_add_f64 v[130:131], v[136:137], v[128:129]
	v_fma_f64 v[10:11], v[197:198], s[14:15], v[221:222]
	v_add_f64 v[136:137], v[207:208], v[209:210]
	v_add_f64 v[4:5], v[205:206], v[4:5]
	v_mul_f64 v[205:206], v[201:202], s[18:19]
	v_mul_f64 v[213:214], v[165:166], s[38:39]
	v_fma_f64 v[207:208], v[157:158], s[8:9], v[132:133]
	v_add_f64 v[128:129], v[134:135], v[8:9]
	v_mul_f64 v[134:135], v[108:109], s[40:41]
	v_fma_f64 v[8:9], v[195:196], s[8:9], v[219:220]
	v_add_f64 v[10:11], v[10:11], v[136:137]
	v_add_f64 v[2:3], v[2:3], v[4:5]
	v_fma_f64 v[4:5], v[191:192], s[20:21], v[138:139]
	v_mul_f64 v[136:137], v[167:168], s[52:53]
	v_mul_f64 v[138:139], v[159:160], s[18:19]
	v_fma_f64 v[211:212], v[153:154], s[14:15], v[205:206]
	v_fma_f64 v[209:210], v[173:174], s[8:9], -v[134:135]
	v_add_f64 v[207:208], v[66:67], v[207:208]
	v_add_f64 v[8:9], v[8:9], v[10:11]
	v_fma_f64 v[10:11], v[187:188], s[26:27], v[215:216]
	v_mul_f64 v[215:216], v[179:180], s[52:53]
	v_fma_f64 v[219:220], v[155:156], s[30:31], v[136:137]
	v_fma_f64 v[217:218], v[171:172], s[14:15], -v[138:139]
	v_fma_f64 v[132:133], v[157:158], s[8:9], -v[132:133]
	v_add_f64 v[209:210], v[64:65], v[209:210]
	v_add_f64 v[207:208], v[211:212], v[207:208]
	;; [unrolled: 1-line block ×3, first 2 shown]
	v_mul_f64 v[8:9], v[163:164], s[48:49]
	v_mul_f64 v[211:212], v[143:144], s[38:39]
	v_fma_f64 v[221:222], v[169:170], s[30:31], -v[215:216]
	v_fma_f64 v[205:206], v[153:154], s[14:15], -v[205:206]
	v_add_f64 v[132:133], v[66:67], v[132:133]
	v_add_f64 v[209:210], v[217:218], v[209:210]
	v_fma_f64 v[217:218], v[151:152], s[20:21], v[213:214]
	v_add_f64 v[207:208], v[219:220], v[207:208]
	v_mul_f64 v[219:220], v[253:254], s[24:25]
	v_mul_f64 v[223:224], v[145:146], s[48:49]
	v_fma_f64 v[225:226], v[181:182], s[20:21], -v[211:212]
	v_fma_f64 v[136:137], v[155:156], s[30:31], -v[136:137]
	v_add_f64 v[132:133], v[205:206], v[132:133]
	v_add_f64 v[209:210], v[221:222], v[209:210]
	v_fma_f64 v[221:222], v[149:150], s[34:35], v[8:9]
	v_add_f64 v[207:208], v[217:218], v[207:208]
	;; [unrolled: 8-line block ×3, first 2 shown]
	v_fma_f64 v[134:135], v[173:174], s[8:9], v[134:135]
	v_fma_f64 v[6:7], v[141:142], s[26:27], -v[6:7]
	v_mul_f64 v[221:222], v[241:242], s[46:47]
	v_fma_f64 v[136:137], v[195:196], s[16:17], -v[205:206]
	v_fma_f64 v[8:9], v[149:150], s[34:35], -v[8:9]
	v_add_f64 v[209:210], v[227:228], v[209:210]
	v_fma_f64 v[227:228], v[161:162], s[26:27], v[217:218]
	v_add_f64 v[207:208], v[225:226], v[207:208]
	v_add_f64 v[132:133], v[213:214], v[132:133]
	v_fma_f64 v[231:232], v[171:172], s[14:15], v[138:139]
	v_add_f64 v[134:135], v[64:65], v[134:135]
	v_mul_f64 v[213:214], v[189:190], s[46:47]
	v_fma_f64 v[225:226], v[191:192], s[26:27], -v[229:230]
	v_add_f64 v[136:137], v[136:137], v[209:210]
	v_fma_f64 v[209:210], v[141:142], s[22:23], v[221:222]
	v_fma_f64 v[219:220], v[147:148], s[16:17], -v[219:220]
	v_add_f64 v[8:9], v[8:9], v[132:133]
	v_add_f64 v[132:133], v[227:228], v[207:208]
	v_add_f64 v[138:139], v[6:7], v[2:3]
	v_fma_f64 v[2:3], v[169:170], s[30:31], v[215:216]
	v_add_f64 v[6:7], v[231:232], v[134:135]
	v_fma_f64 v[207:208], v[187:188], s[22:23], -v[213:214]
	v_add_f64 v[225:226], v[225:226], v[136:137]
	v_fma_f64 v[215:216], v[161:162], s[26:27], -v[217:218]
	v_add_f64 v[8:9], v[219:220], v[8:9]
	v_add_f64 v[136:137], v[10:11], v[4:5]
	;; [unrolled: 1-line block ×3, first 2 shown]
	v_fma_f64 v[4:5], v[181:182], s[20:21], v[211:212]
	v_mul_f64 v[10:11], v[203:204], s[48:49]
	v_add_f64 v[2:3], v[2:3], v[6:7]
	v_mul_f64 v[209:210], v[108:109], s[48:49]
	v_add_f64 v[132:133], v[207:208], v[225:226]
	v_add_f64 v[8:9], v[215:216], v[8:9]
	v_fma_f64 v[207:208], v[197:198], s[34:35], v[223:224]
	v_mul_f64 v[211:212], v[201:202], s[28:29]
	s_mov_b32 s51, 0x3fc7851a
	v_fma_f64 v[215:216], v[157:158], s[34:35], v[10:11]
	v_add_f64 v[2:3], v[4:5], v[2:3]
	v_mul_f64 v[4:5], v[159:160], s[28:29]
	v_fma_f64 v[217:218], v[173:174], s[34:35], -v[209:210]
	s_mov_b32 s50, s18
	v_fma_f64 v[6:7], v[141:142], s[22:23], -v[221:222]
	v_fma_f64 v[205:206], v[195:196], s[16:17], v[205:206]
	v_mul_f64 v[219:220], v[167:168], s[50:51]
	v_fma_f64 v[221:222], v[153:154], s[26:27], v[211:212]
	v_add_f64 v[215:216], v[66:67], v[215:216]
	v_add_f64 v[2:3], v[207:208], v[2:3]
	v_mul_f64 v[223:224], v[179:180], s[50:51]
	v_fma_f64 v[225:226], v[171:172], s[26:27], -v[4:5]
	v_add_f64 v[217:218], v[64:65], v[217:218]
	v_fma_f64 v[207:208], v[191:192], s[26:27], v[229:230]
	v_mul_f64 v[227:228], v[165:166], s[52:53]
	v_fma_f64 v[229:230], v[155:156], s[14:15], v[219:220]
	v_add_f64 v[215:216], v[221:222], v[215:216]
	v_add_f64 v[2:3], v[205:206], v[2:3]
	v_mul_f64 v[221:222], v[143:144], s[52:53]
	v_fma_f64 v[205:206], v[169:170], s[14:15], -v[223:224]
	v_fma_f64 v[10:11], v[157:158], s[34:35], -v[10:11]
	v_add_f64 v[217:218], v[225:226], v[217:218]
	v_mul_f64 v[225:226], v[163:164], s[46:47]
	v_fma_f64 v[231:232], v[151:152], s[30:31], v[227:228]
	v_add_f64 v[215:216], v[229:230], v[215:216]
	v_mul_f64 v[229:230], v[145:146], s[46:47]
	v_fma_f64 v[233:234], v[181:182], s[30:31], -v[221:222]
	v_fma_f64 v[211:212], v[153:154], s[26:27], -v[211:212]
	v_add_f64 v[10:11], v[66:67], v[10:11]
	v_add_f64 v[205:206], v[205:206], v[217:218]
	v_fma_f64 v[235:236], v[149:150], s[22:23], v[225:226]
	v_fma_f64 v[219:220], v[155:156], s[14:15], -v[219:220]
	v_add_f64 v[215:216], v[231:232], v[215:216]
	v_mul_f64 v[231:232], v[199:200], s[36:37]
	v_fma_f64 v[237:238], v[197:198], s[22:23], -v[229:230]
	v_mul_f64 v[217:218], v[253:254], s[36:37]
	v_add_f64 v[10:11], v[211:212], v[10:11]
	v_add_f64 v[205:206], v[233:234], v[205:206]
	v_mov_b32_e32 v105, v240
	v_fma_f64 v[227:228], v[151:152], s[30:31], -v[227:228]
	v_add_f64 v[215:216], v[235:236], v[215:216]
	v_mul_f64 v[235:236], v[193:194], s[40:41]
	v_fma_f64 v[239:240], v[195:196], s[20:21], -v[231:232]
	v_mul_f64 v[233:234], v[104:105], s[40:41]
	v_add_f64 v[10:11], v[219:220], v[10:11]
	v_add_f64 v[205:206], v[237:238], v[205:206]
	v_fma_f64 v[211:212], v[147:148], s[20:21], v[217:218]
	v_fma_f64 v[225:226], v[149:150], s[22:23], -v[225:226]
	v_fma_f64 v[213:214], v[187:188], s[22:23], v[213:214]
	v_fma_f64 v[241:242], v[191:192], s[8:9], -v[235:236]
	v_add_f64 v[2:3], v[207:208], v[2:3]
	v_mul_f64 v[219:220], v[251:252], s[24:25]
	v_add_f64 v[10:11], v[227:228], v[10:11]
	v_add_f64 v[205:206], v[239:240], v[205:206]
	v_fma_f64 v[237:238], v[161:162], s[8:9], v[233:234]
	v_add_f64 v[211:212], v[211:212], v[215:216]
	v_mul_f64 v[215:216], v[189:190], s[24:25]
	v_fma_f64 v[217:218], v[147:148], s[20:21], -v[217:218]
	v_add_f64 v[207:208], v[6:7], v[8:9]
	v_fma_f64 v[227:228], v[141:142], s[16:17], v[219:220]
	v_add_f64 v[10:11], v[225:226], v[10:11]
	v_add_f64 v[225:226], v[241:242], v[205:206]
	;; [unrolled: 1-line block ×3, first 2 shown]
	v_fma_f64 v[2:3], v[173:174], s[34:35], v[209:210]
	v_add_f64 v[211:212], v[237:238], v[211:212]
	v_fma_f64 v[237:238], v[187:188], s[16:17], -v[215:216]
	v_fma_f64 v[6:7], v[161:162], s[8:9], -v[233:234]
	v_mul_f64 v[8:9], v[203:204], s[44:45]
	v_add_f64 v[10:11], v[217:218], v[10:11]
	v_fma_f64 v[4:5], v[171:172], s[26:27], v[4:5]
	v_mul_f64 v[217:218], v[108:109], s[44:45]
	v_add_f64 v[2:3], v[64:65], v[2:3]
	v_add_f64 v[211:212], v[227:228], v[211:212]
	;; [unrolled: 1-line block ×3, first 2 shown]
	v_fma_f64 v[213:214], v[141:142], s[16:17], -v[219:220]
	v_mul_f64 v[219:220], v[201:202], s[40:41]
	v_fma_f64 v[225:226], v[157:158], s[22:23], v[8:9]
	v_add_f64 v[6:7], v[6:7], v[10:11]
	v_fma_f64 v[10:11], v[169:170], s[14:15], v[223:224]
	v_mul_f64 v[223:224], v[159:160], s[40:41]
	v_fma_f64 v[227:228], v[173:174], s[22:23], -v[217:218]
	v_add_f64 v[2:3], v[4:5], v[2:3]
	v_mul_f64 v[4:5], v[167:168], s[28:29]
	v_fma_f64 v[233:234], v[153:154], s[8:9], v[219:220]
	v_add_f64 v[225:226], v[66:67], v[225:226]
	v_fma_f64 v[221:222], v[181:182], s[30:31], v[221:222]
	v_mul_f64 v[237:238], v[179:180], s[28:29]
	v_fma_f64 v[239:240], v[171:172], s[8:9], -v[223:224]
	v_add_f64 v[227:228], v[64:65], v[227:228]
	v_add_f64 v[2:3], v[10:11], v[2:3]
	v_mul_f64 v[10:11], v[165:166], s[18:19]
	v_fma_f64 v[241:242], v[155:156], s[26:27], v[4:5]
	v_add_f64 v[225:226], v[233:234], v[225:226]
	v_fma_f64 v[229:230], v[197:198], s[22:23], v[229:230]
	v_mul_f64 v[233:234], v[143:144], s[18:19]
	v_fma_f64 v[243:244], v[169:170], s[26:27], -v[237:238]
	v_add_f64 v[227:228], v[239:240], v[227:228]
	;; [unrolled: 8-line block ×3, first 2 shown]
	v_add_f64 v[2:3], v[229:230], v[2:3]
	v_fma_f64 v[243:244], v[149:150], s[16:17], v[221:222]
	v_fma_f64 v[235:236], v[191:192], s[8:9], v[235:236]
	v_add_f64 v[225:226], v[239:240], v[225:226]
	v_mul_f64 v[239:240], v[199:200], s[52:53]
	v_fma_f64 v[247:248], v[197:198], s[16:17], -v[241:242]
	v_fma_f64 v[8:9], v[157:158], s[22:23], -v[8:9]
	v_add_f64 v[227:228], v[245:246], v[227:228]
	v_add_f64 v[2:3], v[231:232], v[2:3]
	v_fma_f64 v[4:5], v[155:156], s[26:27], -v[4:5]
	v_fma_f64 v[10:11], v[151:152], s[14:15], -v[10:11]
	v_add_f64 v[225:226], v[243:244], v[225:226]
	v_fma_f64 v[243:244], v[187:188], s[16:17], v[215:216]
	v_fma_f64 v[215:216], v[195:196], s[30:31], -v[239:240]
	v_add_f64 v[70:71], v[66:67], v[70:71]
	v_add_f64 v[227:228], v[247:248], v[227:228]
	v_add_f64 v[2:3], v[235:236], v[2:3]
	v_add_f64 v[68:69], v[64:65], v[68:69]
	v_mul_f64 v[229:230], v[253:254], s[52:53]
	v_fma_f64 v[221:222], v[149:150], s[16:17], -v[221:222]
	v_mul_f64 v[231:232], v[104:105], s[42:43]
	v_mul_f64 v[235:236], v[251:252], s[38:39]
	v_add_f64 v[70:71], v[70:71], v[74:75]
	v_add_f64 v[227:228], v[215:216], v[227:228]
	;; [unrolled: 1-line block ×4, first 2 shown]
	v_fma_f64 v[2:3], v[153:154], s[8:9], -v[219:220]
	v_add_f64 v[6:7], v[66:67], v[8:9]
	v_add_f64 v[68:69], v[68:69], v[72:73]
	v_fma_f64 v[247:248], v[161:162], s[34:35], v[231:232]
	v_add_f64 v[70:71], v[70:71], v[78:79]
	v_fma_f64 v[231:232], v[161:162], s[34:35], -v[231:232]
	v_fma_f64 v[8:9], v[141:142], s[20:21], -v[235:236]
	v_fma_f64 v[217:218], v[173:174], s[22:23], v[217:218]
	v_mul_f64 v[203:204], v[203:204], s[36:37]
	v_add_f64 v[2:3], v[2:3], v[6:7]
	v_fma_f64 v[6:7], v[147:148], s[30:31], -v[229:230]
	v_add_f64 v[68:69], v[68:69], v[76:77]
	v_add_f64 v[70:71], v[70:71], v[82:83]
	v_fma_f64 v[245:246], v[147:148], s[30:31], v[229:230]
	v_fma_f64 v[223:224], v[171:172], s[8:9], v[223:224]
	v_add_f64 v[217:218], v[64:65], v[217:218]
	v_mul_f64 v[201:202], v[201:202], s[44:45]
	v_add_f64 v[2:3], v[4:5], v[2:3]
	v_fma_f64 v[229:230], v[157:158], s[20:21], v[203:204]
	v_add_f64 v[68:69], v[68:69], v[80:81]
	v_add_f64 v[70:71], v[70:71], v[86:87]
	v_mul_f64 v[86:87], v[108:109], s[36:37]
	v_fma_f64 v[4:5], v[169:170], s[26:27], v[237:238]
	v_add_f64 v[217:218], v[223:224], v[217:218]
	v_mul_f64 v[167:168], v[167:168], s[48:49]
	v_add_f64 v[2:3], v[10:11], v[2:3]
	v_fma_f64 v[223:224], v[153:154], s[22:23], v[201:202]
	v_add_f64 v[82:83], v[68:69], v[84:85]
	v_add_f64 v[229:230], v[66:67], v[229:230]
	v_fma_f64 v[10:11], v[181:182], s[14:15], v[233:234]
	v_mul_f64 v[72:73], v[165:166], s[40:41]
	v_add_f64 v[4:5], v[4:5], v[217:218]
	v_fma_f64 v[74:75], v[155:156], s[34:35], v[167:168]
	v_add_f64 v[2:3], v[221:222], v[2:3]
	v_fma_f64 v[217:218], v[197:198], s[16:17], v[241:242]
	v_mul_f64 v[249:250], v[193:194], s[42:43]
	v_add_f64 v[165:166], v[223:224], v[229:230]
	v_mul_f64 v[78:79], v[253:254], s[28:29]
	v_fma_f64 v[76:77], v[151:152], s[8:9], v[72:73]
	v_add_f64 v[4:5], v[10:11], v[4:5]
	v_mul_f64 v[10:11], v[163:164], s[10:11]
	v_add_f64 v[2:3], v[6:7], v[2:3]
	v_fma_f64 v[72:73], v[151:152], s[8:9], -v[72:73]
	v_fma_f64 v[6:7], v[195:196], s[30:31], v[239:240]
	v_add_f64 v[74:75], v[74:75], v[165:166]
	v_mov_b32_e32 v107, v105
	v_mov_b32_e32 v106, v104
	v_add_f64 v[4:5], v[217:218], v[4:5]
	v_fma_f64 v[80:81], v[149:150], s[30:31], v[10:11]
	v_add_f64 v[2:3], v[231:232], v[2:3]
	v_fma_f64 v[10:11], v[149:150], s[30:31], -v[10:11]
	v_fma_f64 v[84:85], v[147:148], s[26:27], v[78:79]
	v_add_f64 v[74:75], v[76:77], v[74:75]
	v_fma_f64 v[76:77], v[191:192], s[34:35], v[249:250]
	v_mov_b32_e32 v104, v251
	v_add_f64 v[4:5], v[6:7], v[4:5]
	v_mul_f64 v[6:7], v[106:107], s[24:25]
	v_add_f64 v[68:69], v[8:9], v[2:3]
	v_add_f64 v[2:3], v[70:71], v[90:91]
	;; [unrolled: 1-line block ×3, first 2 shown]
	v_mul_f64 v[90:91], v[145:146], s[10:11]
	v_fma_f64 v[145:146], v[153:154], s[22:23], -v[201:202]
	v_add_f64 v[74:75], v[80:81], v[74:75]
	v_mul_f64 v[88:89], v[199:200], s[28:29]
	v_mov_b32_e32 v105, v252
	v_add_f64 v[70:71], v[76:77], v[4:5]
	v_add_f64 v[2:3], v[2:3], v[94:95]
	;; [unrolled: 1-line block ×3, first 2 shown]
	v_fma_f64 v[94:95], v[157:158], s[20:21], -v[203:204]
	v_mul_f64 v[92:93], v[143:144], s[40:41]
	v_mul_f64 v[143:144], v[159:160], s[44:45]
	;; [unrolled: 1-line block ×3, first 2 shown]
	v_fma_f64 v[76:77], v[161:162], s[16:17], v[6:7]
	v_add_f64 v[74:75], v[84:85], v[74:75]
	v_add_f64 v[2:3], v[2:3], v[98:99]
	;; [unrolled: 1-line block ×3, first 2 shown]
	v_fma_f64 v[96:97], v[173:174], s[20:21], v[86:87]
	v_fma_f64 v[86:87], v[173:174], s[20:21], -v[86:87]
	v_add_f64 v[66:67], v[66:67], v[94:95]
	v_mul_f64 v[98:99], v[179:180], s[48:49]
	v_fma_f64 v[94:95], v[171:172], s[22:23], v[143:144]
	v_mul_f64 v[84:85], v[193:194], s[24:25]
	v_add_f64 v[2:3], v[2:3], v[102:103]
	v_add_f64 v[8:9], v[8:9], v[100:101]
	;; [unrolled: 1-line block ×3, first 2 shown]
	v_fma_f64 v[100:101], v[171:172], s[22:23], -v[143:144]
	v_add_f64 v[64:65], v[64:65], v[86:87]
	v_fma_f64 v[86:87], v[155:156], s[34:35], -v[167:168]
	v_add_f64 v[66:67], v[145:146], v[66:67]
	v_fma_f64 v[102:103], v[169:170], s[34:35], v[98:99]
	v_add_f64 v[2:3], v[2:3], v[26:27]
	v_add_f64 v[8:9], v[8:9], v[24:25]
	v_add_f64 v[24:25], v[94:95], v[96:97]
	v_fma_f64 v[26:27], v[169:170], s[34:35], -v[98:99]
	v_add_f64 v[64:65], v[100:101], v[64:65]
	v_fma_f64 v[6:7], v[161:162], s[16:17], -v[6:7]
	v_add_f64 v[66:67], v[86:87], v[66:67]
	v_fma_f64 v[86:87], v[181:182], s[8:9], v[92:93]
	v_add_f64 v[2:3], v[2:3], v[22:23]
	v_add_f64 v[8:9], v[8:9], v[20:21]
	;; [unrolled: 1-line block ×3, first 2 shown]
	v_fma_f64 v[22:23], v[181:182], s[8:9], -v[92:93]
	v_add_f64 v[24:25], v[26:27], v[64:65]
	v_fma_f64 v[64:65], v[197:198], s[30:31], v[90:91]
	v_add_f64 v[26:27], v[72:73], v[66:67]
	buffer_load_dword v163, off, s[64:67], 0 offset:100 ; 4-byte Folded Reload
	v_add_f64 v[2:3], v[2:3], v[18:19]
	v_add_f64 v[8:9], v[8:9], v[16:17]
	v_add_f64 v[16:17], v[86:87], v[20:21]
	v_fma_f64 v[18:19], v[197:198], s[30:31], -v[90:91]
	v_add_f64 v[20:21], v[22:23], v[24:25]
	v_fma_f64 v[22:23], v[147:148], s[26:27], -v[78:79]
	v_add_f64 v[10:11], v[10:11], v[26:27]
	v_fma_f64 v[24:25], v[195:196], s[26:27], v[88:89]
	v_add_f64 v[2:3], v[2:3], v[14:15]
	v_add_f64 v[8:9], v[8:9], v[12:13]
	;; [unrolled: 1-line block ×3, first 2 shown]
	v_fma_f64 v[14:15], v[195:196], s[26:27], -v[88:89]
	v_add_f64 v[16:17], v[18:19], v[20:21]
	v_fma_f64 v[18:19], v[191:192], s[16:17], v[84:85]
	v_add_f64 v[10:11], v[22:23], v[10:11]
	v_add_f64 v[26:27], v[76:77], v[74:75]
	;; [unrolled: 1-line block ×5, first 2 shown]
	v_mul_f64 v[82:83], v[189:190], s[18:19]
	v_add_f64 v[14:15], v[14:15], v[16:17]
	v_fma_f64 v[16:17], v[141:142], s[14:15], -v[4:5]
	v_add_f64 v[6:7], v[6:7], v[10:11]
	v_add_f64 v[225:226], v[245:246], v[225:226]
	;; [unrolled: 1-line block ×5, first 2 shown]
	v_fma_f64 v[18:19], v[141:142], s[14:15], v[4:5]
	v_mul_f64 v[245:246], v[189:190], s[38:39]
	v_fma_f64 v[22:23], v[187:188], s[14:15], v[82:83]
	v_add_f64 v[5:6], v[16:17], v[6:7]
	buffer_load_dword v7, off, s[64:67], 0 offset:104 ; 4-byte Folded Reload
	buffer_load_dword v8, off, s[64:67], 0 offset:108 ; 4-byte Folded Reload
	;; [unrolled: 1-line block ×4, first 2 shown]
	v_fma_f64 v[251:252], v[191:192], s[34:35], -v[249:250]
	v_fma_f64 v[20:21], v[191:192], s[16:17], -v[84:85]
	v_fma_f64 v[243:244], v[141:142], s[20:21], v[235:236]
	v_add_f64 v[17:18], v[18:19], v[26:27]
	v_fma_f64 v[80:81], v[187:188], s[20:21], v[245:246]
	v_add_f64 v[225:226], v[247:248], v[225:226]
	v_fma_f64 v[219:220], v[187:188], s[20:21], -v[245:246]
	v_fma_f64 v[64:65], v[187:188], s[14:15], -v[82:83]
	v_add_f64 v[227:228], v[251:252], v[227:228]
	v_add_f64 v[20:21], v[20:21], v[14:15]
	v_add_f64 v[66:67], v[80:81], v[70:71]
	v_add_f64 v[13:14], v[243:244], v[225:226]
	v_add_f64 v[15:16], v[64:65], v[20:21]
	s_waitcnt vmcnt(0)
	v_add_f64 v[9:10], v[2:3], v[9:10]
	buffer_load_dword v2, off, s[64:67], 0 offset:120 ; 4-byte Folded Reload
	buffer_load_dword v19, off, s[64:67], 0 ; 4-byte Folded Reload
	v_add_f64 v[7:8], v[24:25], v[7:8]
	v_add_f64 v[3:4], v[22:23], v[11:12]
	;; [unrolled: 1-line block ×3, first 2 shown]
	s_waitcnt vmcnt(0)
	v_lshl_add_u32 v2, v2, 4, v19
	ds_write_b128 v2, v[7:10]
	ds_write_b128 v2, v[3:6] offset:16
	ds_write_b128 v2, v[66:69] offset:32
	;; [unrolled: 1-line block ×8, first 2 shown]
	buffer_load_dword v3, off, s[64:67], 0 offset:124 ; 4-byte Folded Reload
	buffer_load_dword v4, off, s[64:67], 0 offset:128 ; 4-byte Folded Reload
	;; [unrolled: 1-line block ×4, first 2 shown]
	s_waitcnt vmcnt(0)
	ds_write_b128 v2, v[3:6] offset:144
	buffer_load_dword v3, off, s[64:67], 0 offset:140 ; 4-byte Folded Reload
	buffer_load_dword v4, off, s[64:67], 0 offset:144 ; 4-byte Folded Reload
	;; [unrolled: 1-line block ×4, first 2 shown]
	s_waitcnt vmcnt(0)
	ds_write_b128 v2, v[3:6] offset:160
	ds_write_b128 v2, v[116:119] offset:176
	;; [unrolled: 1-line block ×7, first 2 shown]
.LBB0_13:
	s_or_b64 exec, exec, s[4:5]
	s_waitcnt lgkmcnt(0)
	s_barrier
	ds_read_b128 v[2:5], v1
	ds_read_b128 v[6:9], v1 offset:272
	ds_read_b128 v[10:13], v1 offset:544
	;; [unrolled: 1-line block ×5, first 2 shown]
	s_waitcnt lgkmcnt(4)
	v_mul_f64 v[26:27], v[46:47], v[8:9]
	v_mul_f64 v[46:47], v[46:47], v[6:7]
	s_waitcnt lgkmcnt(3)
	v_mul_f64 v[80:81], v[38:39], v[12:13]
	v_mul_f64 v[38:39], v[38:39], v[10:11]
	ds_read_b128 v[64:67], v1 offset:1632
	ds_read_b128 v[68:71], v1 offset:1904
	s_waitcnt lgkmcnt(3)
	v_mul_f64 v[30:31], v[185:186], v[18:19]
	ds_read_b128 v[72:75], v1 offset:2176
	ds_read_b128 v[76:79], v1 offset:2448
	s_mov_b32 s8, 0x134454ff
	v_fma_f64 v[6:7], v[44:45], v[6:7], v[26:27]
	v_fma_f64 v[8:9], v[44:45], v[8:9], -v[46:47]
	v_mul_f64 v[26:27], v[34:35], v[16:17]
	v_mul_f64 v[44:45], v[185:186], v[20:21]
	v_fma_f64 v[12:13], v[36:37], v[12:13], -v[38:39]
	s_waitcnt lgkmcnt(3)
	v_mul_f64 v[38:39], v[50:51], v[66:67]
	v_mul_f64 v[34:35], v[34:35], v[14:15]
	v_fma_f64 v[10:11], v[36:37], v[10:11], v[80:81]
	v_mul_f64 v[36:37], v[58:59], v[24:25]
	v_fma_f64 v[20:21], v[183:184], v[20:21], -v[30:31]
	v_fma_f64 v[14:15], v[32:33], v[14:15], v[26:27]
	v_mul_f64 v[26:27], v[58:59], v[22:23]
	v_fma_f64 v[18:19], v[183:184], v[18:19], v[44:45]
	v_fma_f64 v[28:29], v[48:49], v[64:65], v[38:39]
	s_waitcnt lgkmcnt(1)
	v_mul_f64 v[30:31], v[54:55], v[72:73]
	v_fma_f64 v[16:17], v[32:33], v[16:17], -v[34:35]
	v_fma_f64 v[22:23], v[56:57], v[22:23], v[36:37]
	v_mul_f64 v[34:35], v[54:55], v[74:75]
	v_mul_f64 v[36:37], v[42:43], v[70:71]
	v_fma_f64 v[24:25], v[56:57], v[24:25], -v[26:27]
	v_mul_f64 v[26:27], v[50:51], v[64:65]
	v_mul_f64 v[38:39], v[42:43], v[68:69]
	v_add_f64 v[42:43], v[18:19], v[28:29]
	v_fma_f64 v[30:31], v[52:53], v[74:75], -v[30:31]
	s_waitcnt lgkmcnt(0)
	v_mul_f64 v[44:45], v[62:63], v[78:79]
	v_fma_f64 v[34:35], v[52:53], v[72:73], v[34:35]
	v_mul_f64 v[46:47], v[62:63], v[76:77]
	s_mov_b32 s9, 0xbfee6f0e
	v_fma_f64 v[26:27], v[48:49], v[66:67], -v[26:27]
	v_add_f64 v[32:33], v[2:3], v[10:11]
	v_fma_f64 v[42:43], v[42:43], -0.5, v[2:3]
	v_add_f64 v[48:49], v[12:13], -v[30:31]
	v_fma_f64 v[36:37], v[40:41], v[68:69], v[36:37]
	v_fma_f64 v[38:39], v[40:41], v[70:71], -v[38:39]
	v_fma_f64 v[40:41], v[60:61], v[76:77], v[44:45]
	v_fma_f64 v[44:45], v[60:61], v[78:79], -v[46:47]
	v_add_f64 v[46:47], v[10:11], v[34:35]
	v_add_f64 v[52:53], v[20:21], -v[26:27]
	v_add_f64 v[54:55], v[10:11], -v[18:19]
	v_fma_f64 v[50:51], v[48:49], s[8:9], v[42:43]
	v_add_f64 v[56:57], v[34:35], -v[28:29]
	s_mov_b32 s16, 0x4755a5e
	s_mov_b32 s5, 0x3fee6f0e
	;; [unrolled: 1-line block ×4, first 2 shown]
	v_add_f64 v[32:33], v[32:33], v[18:19]
	v_fma_f64 v[42:43], v[48:49], s[4:5], v[42:43]
	v_fma_f64 v[1:2], v[46:47], -0.5, v[2:3]
	v_fma_f64 v[46:47], v[52:53], s[16:17], v[50:51]
	v_add_f64 v[50:51], v[54:55], v[56:57]
	v_add_f64 v[54:55], v[20:21], v[26:27]
	s_mov_b32 s11, 0x3fe2cf23
	s_mov_b32 s10, s16
	v_add_f64 v[32:33], v[32:33], v[28:29]
	v_fma_f64 v[42:43], v[52:53], s[10:11], v[42:43]
	v_fma_f64 v[56:57], v[52:53], s[4:5], v[1:2]
	v_add_f64 v[58:59], v[18:19], -v[10:11]
	v_add_f64 v[60:61], v[28:29], -v[34:35]
	v_add_f64 v[62:63], v[4:5], v[12:13]
	v_fma_f64 v[54:55], v[54:55], -0.5, v[4:5]
	v_add_f64 v[10:11], v[10:11], -v[34:35]
	v_fma_f64 v[1:2], v[52:53], s[8:9], v[1:2]
	s_mov_b32 s14, 0x372fe950
	s_mov_b32 s15, 0x3fd3c6ef
	v_add_f64 v[32:33], v[32:33], v[34:35]
	v_fma_f64 v[34:35], v[50:51], s[14:15], v[46:47]
	v_fma_f64 v[42:43], v[50:51], s[14:15], v[42:43]
	v_fma_f64 v[46:47], v[48:49], s[16:17], v[56:57]
	v_add_f64 v[50:51], v[58:59], v[60:61]
	v_add_f64 v[52:53], v[62:63], v[20:21]
	v_fma_f64 v[56:57], v[10:11], s[4:5], v[54:55]
	v_add_f64 v[18:19], v[18:19], -v[28:29]
	v_add_f64 v[28:29], v[12:13], -v[20:21]
	;; [unrolled: 1-line block ×3, first 2 shown]
	v_fma_f64 v[54:55], v[10:11], s[8:9], v[54:55]
	v_add_f64 v[60:61], v[12:13], v[30:31]
	v_fma_f64 v[1:2], v[48:49], s[10:11], v[1:2]
	v_add_f64 v[48:49], v[52:53], v[26:27]
	v_fma_f64 v[46:47], v[50:51], s[14:15], v[46:47]
	v_add_f64 v[52:53], v[22:23], v[36:37]
	v_fma_f64 v[56:57], v[18:19], s[10:11], v[56:57]
	v_add_f64 v[28:29], v[28:29], v[58:59]
	v_fma_f64 v[54:55], v[18:19], s[16:17], v[54:55]
	v_fma_f64 v[3:4], v[60:61], -0.5, v[4:5]
	v_fma_f64 v[50:51], v[50:51], s[14:15], v[1:2]
	v_add_f64 v[1:2], v[6:7], v[14:15]
	v_add_f64 v[58:59], v[16:17], -v[44:45]
	v_fma_f64 v[52:53], v[52:53], -0.5, v[6:7]
	v_add_f64 v[12:13], v[20:21], -v[12:13]
	v_fma_f64 v[56:57], v[28:29], s[14:15], v[56:57]
	v_fma_f64 v[54:55], v[28:29], s[14:15], v[54:55]
	;; [unrolled: 1-line block ×3, first 2 shown]
	v_add_f64 v[20:21], v[26:27], -v[30:31]
	v_add_f64 v[1:2], v[1:2], v[22:23]
	v_add_f64 v[48:49], v[48:49], v[30:31]
	v_fma_f64 v[3:4], v[18:19], s[4:5], v[3:4]
	v_fma_f64 v[18:19], v[58:59], s[8:9], v[52:53]
	v_add_f64 v[26:27], v[24:25], -v[38:39]
	v_add_f64 v[30:31], v[14:15], -v[22:23]
	;; [unrolled: 1-line block ×3, first 2 shown]
	v_fma_f64 v[28:29], v[10:11], s[10:11], v[28:29]
	v_add_f64 v[64:65], v[24:25], v[38:39]
	v_add_f64 v[12:13], v[12:13], v[20:21]
	;; [unrolled: 1-line block ×4, first 2 shown]
	v_fma_f64 v[3:4], v[10:11], s[16:17], v[3:4]
	v_fma_f64 v[10:11], v[26:27], s[16:17], v[18:19]
	v_add_f64 v[18:19], v[30:31], v[60:61]
	v_fma_f64 v[20:21], v[58:59], s[4:5], v[52:53]
	v_fma_f64 v[30:31], v[64:65], -0.5, v[8:9]
	v_add_f64 v[52:53], v[14:15], -v[40:41]
	v_fma_f64 v[60:61], v[12:13], s[14:15], v[28:29]
	v_add_f64 v[28:29], v[1:2], v[40:41]
	v_add_f64 v[1:2], v[16:17], v[44:45]
	v_fma_f64 v[5:6], v[62:63], -0.5, v[6:7]
	v_fma_f64 v[62:63], v[12:13], s[14:15], v[3:4]
	v_fma_f64 v[12:13], v[26:27], s[10:11], v[20:21]
	v_add_f64 v[64:65], v[22:23], -v[36:37]
	v_fma_f64 v[20:21], v[52:53], s[4:5], v[30:31]
	v_add_f64 v[66:67], v[16:17], -v[24:25]
	v_add_f64 v[68:69], v[44:45], -v[38:39]
	v_fma_f64 v[1:2], v[1:2], -0.5, v[8:9]
	v_add_f64 v[7:8], v[8:9], v[16:17]
	v_fma_f64 v[3:4], v[26:27], s[4:5], v[5:6]
	v_add_f64 v[14:15], v[22:23], -v[14:15]
	v_add_f64 v[22:23], v[36:37], -v[40:41]
	v_fma_f64 v[5:6], v[26:27], s[8:9], v[5:6]
	v_fma_f64 v[20:21], v[64:65], s[10:11], v[20:21]
	v_add_f64 v[26:27], v[66:67], v[68:69]
	v_fma_f64 v[36:37], v[64:65], s[8:9], v[1:2]
	v_add_f64 v[16:17], v[24:25], -v[16:17]
	v_add_f64 v[40:41], v[38:39], -v[44:45]
	v_fma_f64 v[1:2], v[64:65], s[4:5], v[1:2]
	v_add_f64 v[7:8], v[7:8], v[24:25]
	v_fma_f64 v[24:25], v[52:53], s[8:9], v[30:31]
	v_fma_f64 v[3:4], v[58:59], s[16:17], v[3:4]
	v_add_f64 v[14:15], v[14:15], v[22:23]
	v_fma_f64 v[5:6], v[58:59], s[10:11], v[5:6]
	v_fma_f64 v[20:21], v[26:27], s[14:15], v[20:21]
	;; [unrolled: 1-line block ×3, first 2 shown]
	v_add_f64 v[16:17], v[16:17], v[40:41]
	v_fma_f64 v[1:2], v[52:53], s[16:17], v[1:2]
	v_add_f64 v[7:8], v[7:8], v[38:39]
	v_fma_f64 v[24:25], v[64:65], s[16:17], v[24:25]
	v_fma_f64 v[10:11], v[18:19], s[14:15], v[10:11]
	v_fma_f64 v[12:13], v[18:19], s[14:15], v[12:13]
	v_fma_f64 v[3:4], v[14:15], s[14:15], v[3:4]
	v_fma_f64 v[14:15], v[14:15], s[14:15], v[5:6]
	v_mul_f64 v[5:6], v[20:21], s[16:17]
	v_fma_f64 v[18:19], v[16:17], s[14:15], v[22:23]
	v_fma_f64 v[16:17], v[16:17], s[14:15], v[1:2]
	v_add_f64 v[39:40], v[7:8], v[44:45]
	v_fma_f64 v[7:8], v[26:27], s[14:15], v[24:25]
	s_mov_b32 s18, 0x9b97f4a8
	s_mov_b32 s19, 0x3fe9e377
	v_mul_f64 v[20:21], v[20:21], s[18:19]
	v_fma_f64 v[23:24], v[10:11], s[18:19], v[5:6]
	v_mul_f64 v[5:6], v[18:19], s[8:9]
	v_mul_f64 v[25:26], v[16:17], s[8:9]
	s_mov_b32 s9, 0xbfd3c6ef
	s_mov_b32 s8, s14
	v_mul_f64 v[18:19], v[18:19], s[14:15]
	v_mul_f64 v[30:31], v[7:8], s[16:17]
	s_mov_b32 s17, 0xbfe9e377
	s_mov_b32 s16, s18
	v_mul_f64 v[16:17], v[16:17], s[8:9]
	v_mul_f64 v[7:8], v[7:8], s[16:17]
	v_fma_f64 v[58:59], v[10:11], s[10:11], v[20:21]
	v_fma_f64 v[36:37], v[3:4], s[14:15], v[5:6]
	;; [unrolled: 1-line block ×5, first 2 shown]
	v_add_f64 v[1:2], v[32:33], v[28:29]
	v_fma_f64 v[66:67], v[14:15], s[4:5], v[16:17]
	v_fma_f64 v[68:69], v[12:13], s[10:11], v[7:8]
	v_add_f64 v[3:4], v[48:49], v[39:40]
	v_add_f64 v[5:6], v[34:35], v[23:24]
	;; [unrolled: 1-line block ×9, first 2 shown]
	v_add_f64 v[21:22], v[32:33], -v[28:29]
	v_add_f64 v[25:26], v[34:35], -v[23:24]
	;; [unrolled: 1-line block ×10, first 2 shown]
	ds_write_b128 v0, v[1:4]
	ds_write_b128 v0, v[5:8] offset:272
	ds_write_b128 v0, v[9:12] offset:544
	;; [unrolled: 1-line block ×9, first 2 shown]
	s_waitcnt lgkmcnt(0)
	s_barrier
	s_and_b64 exec, exec, vcc
	s_cbranch_execz .LBB0_15
; %bb.14:
	global_load_dwordx4 v[1:4], v255, s[6:7]
	ds_read_b128 v[5:8], v0
	ds_read_b128 v[9:12], v0 offset:160
	v_mad_u64_u32 v[13:14], s[4:5], s2, v140, 0
	v_mad_u64_u32 v[15:16], s[4:5], s0, v163, 0
	s_mul_i32 s5, s1, 0xa0
	s_mul_hi_u32 s8, s0, 0xa0
	v_mad_u64_u32 v[19:20], s[2:3], s3, v140, v[14:15]
	s_mul_i32 s4, s0, 0xa0
	s_add_i32 s5, s8, s5
	v_mov_b32_e32 v14, v19
	s_waitcnt vmcnt(0) lgkmcnt(1)
	v_mul_f64 v[17:18], v[7:8], v[3:4]
	v_mul_f64 v[3:4], v[5:6], v[3:4]
	v_fma_f64 v[5:6], v[5:6], v[1:2], v[17:18]
	v_fma_f64 v[1:2], v[1:2], v[7:8], -v[3:4]
	v_mad_u64_u32 v[20:21], s[2:3], s1, v163, v[16:17]
	s_mov_b32 s2, 0x18181818
	s_mov_b32 s3, 0x3f781818
	v_lshlrev_b64 v[7:8], 4, v[13:14]
	v_mov_b32_e32 v16, v20
	v_mul_f64 v[3:4], v[5:6], s[2:3]
	v_mul_f64 v[5:6], v[1:2], s[2:3]
	v_mov_b32_e32 v17, s13
	v_lshlrev_b64 v[13:14], 4, v[15:16]
	v_add_co_u32_e32 v1, vcc, s12, v7
	v_addc_co_u32_e32 v2, vcc, v17, v8, vcc
	v_add_co_u32_e32 v7, vcc, v1, v13
	v_addc_co_u32_e32 v8, vcc, v2, v14, vcc
	global_store_dwordx4 v[7:8], v[3:6], off
	global_load_dwordx4 v[3:6], v255, s[6:7] offset:160
	v_add_co_u32_e32 v15, vcc, s4, v7
	v_or_b32_e32 v21, 0x50, v163
	v_mad_u64_u32 v[19:20], s[8:9], s0, v21, 0
	s_waitcnt vmcnt(0) lgkmcnt(0)
	v_mul_f64 v[13:14], v[11:12], v[5:6]
	v_mul_f64 v[5:6], v[9:10], v[5:6]
	v_fma_f64 v[9:10], v[9:10], v[3:4], v[13:14]
	v_fma_f64 v[5:6], v[3:4], v[11:12], -v[5:6]
	v_mul_f64 v[3:4], v[9:10], s[2:3]
	v_mul_f64 v[5:6], v[5:6], s[2:3]
	v_mov_b32_e32 v9, s5
	v_addc_co_u32_e32 v16, vcc, v8, v9, vcc
	global_store_dwordx4 v[15:16], v[3:6], off
	global_load_dwordx4 v[3:6], v255, s[6:7] offset:320
	ds_read_b128 v[7:10], v0 offset:320
	ds_read_b128 v[11:14], v0 offset:480
	s_waitcnt vmcnt(0) lgkmcnt(1)
	v_mul_f64 v[17:18], v[9:10], v[5:6]
	v_mul_f64 v[5:6], v[7:8], v[5:6]
	v_fma_f64 v[7:8], v[7:8], v[3:4], v[17:18]
	v_fma_f64 v[5:6], v[3:4], v[9:10], -v[5:6]
	v_mul_f64 v[3:4], v[7:8], s[2:3]
	v_mul_f64 v[5:6], v[5:6], s[2:3]
	v_mov_b32_e32 v8, s5
	v_add_co_u32_e32 v7, vcc, s4, v15
	v_addc_co_u32_e32 v8, vcc, v16, v8, vcc
	v_add_co_u32_e32 v15, vcc, s4, v7
	global_store_dwordx4 v[7:8], v[3:6], off
	global_load_dwordx4 v[3:6], v255, s[6:7] offset:480
	s_waitcnt vmcnt(0) lgkmcnt(0)
	v_mul_f64 v[9:10], v[13:14], v[5:6]
	v_mul_f64 v[5:6], v[11:12], v[5:6]
	v_fma_f64 v[9:10], v[11:12], v[3:4], v[9:10]
	v_fma_f64 v[5:6], v[3:4], v[13:14], -v[5:6]
	v_mul_f64 v[3:4], v[9:10], s[2:3]
	v_mul_f64 v[5:6], v[5:6], s[2:3]
	v_mov_b32_e32 v9, s5
	v_addc_co_u32_e32 v16, vcc, v8, v9, vcc
	global_store_dwordx4 v[15:16], v[3:6], off
	global_load_dwordx4 v[3:6], v255, s[6:7] offset:640
	ds_read_b128 v[7:10], v0 offset:640
	ds_read_b128 v[11:14], v0 offset:800
	s_waitcnt vmcnt(0) lgkmcnt(1)
	v_mul_f64 v[17:18], v[9:10], v[5:6]
	v_mul_f64 v[5:6], v[7:8], v[5:6]
	v_fma_f64 v[7:8], v[7:8], v[3:4], v[17:18]
	v_fma_f64 v[5:6], v[3:4], v[9:10], -v[5:6]
	v_mul_f64 v[3:4], v[7:8], s[2:3]
	v_mul_f64 v[5:6], v[5:6], s[2:3]
	v_mov_b32_e32 v8, s5
	v_add_co_u32_e32 v7, vcc, s4, v15
	v_addc_co_u32_e32 v8, vcc, v16, v8, vcc
	v_add_co_u32_e32 v15, vcc, s4, v7
	global_store_dwordx4 v[7:8], v[3:6], off
	global_load_dwordx4 v[3:6], v255, s[6:7] offset:800
	;; [unrolled: 26-line block ×3, first 2 shown]
	s_waitcnt vmcnt(0) lgkmcnt(0)
	v_mul_f64 v[9:10], v[13:14], v[5:6]
	v_mul_f64 v[5:6], v[11:12], v[5:6]
	v_fma_f64 v[9:10], v[11:12], v[3:4], v[9:10]
	v_fma_f64 v[5:6], v[3:4], v[13:14], -v[5:6]
	v_mul_f64 v[3:4], v[9:10], s[2:3]
	v_mul_f64 v[5:6], v[5:6], s[2:3]
	v_mov_b32_e32 v9, s5
	v_addc_co_u32_e32 v16, vcc, v8, v9, vcc
	global_store_dwordx4 v[15:16], v[3:6], off
	global_load_dwordx4 v[3:6], v255, s[6:7] offset:1280
	ds_read_b128 v[7:10], v0 offset:1280
	ds_read_b128 v[11:14], v0 offset:1440
	s_waitcnt vmcnt(0) lgkmcnt(1)
	v_mul_f64 v[17:18], v[9:10], v[5:6]
	v_mul_f64 v[5:6], v[7:8], v[5:6]
	v_fma_f64 v[7:8], v[7:8], v[3:4], v[17:18]
	v_fma_f64 v[5:6], v[3:4], v[9:10], -v[5:6]
	v_mov_b32_e32 v3, v20
	v_mad_u64_u32 v[9:10], s[8:9], s1, v21, v[3:4]
	v_mov_b32_e32 v20, v9
	v_mul_f64 v[3:4], v[7:8], s[2:3]
	v_mul_f64 v[5:6], v[5:6], s[2:3]
	v_lshlrev_b64 v[7:8], 4, v[19:20]
	v_add_co_u32_e32 v7, vcc, v1, v7
	v_addc_co_u32_e32 v8, vcc, v2, v8, vcc
	global_store_dwordx4 v[7:8], v[3:6], off
	global_load_dwordx4 v[3:6], v255, s[6:7] offset:1440
	s_waitcnt vmcnt(0) lgkmcnt(0)
	v_mul_f64 v[7:8], v[13:14], v[5:6]
	v_mul_f64 v[5:6], v[11:12], v[5:6]
	v_fma_f64 v[7:8], v[11:12], v[3:4], v[7:8]
	v_fma_f64 v[5:6], v[3:4], v[13:14], -v[5:6]
	v_mul_f64 v[3:4], v[7:8], s[2:3]
	v_mul_f64 v[5:6], v[5:6], s[2:3]
	v_mov_b32_e32 v7, 0x140
	v_mad_u64_u32 v[15:16], s[8:9], s0, v7, v[15:16]
	s_mul_i32 s8, s1, 0x140
	v_add_u32_e32 v16, s8, v16
	global_store_dwordx4 v[15:16], v[3:6], off
	global_load_dwordx4 v[3:6], v255, s[6:7] offset:1600
	ds_read_b128 v[7:10], v0 offset:1600
	ds_read_b128 v[11:14], v0 offset:1760
	s_waitcnt vmcnt(0) lgkmcnt(1)
	v_mul_f64 v[17:18], v[9:10], v[5:6]
	v_mul_f64 v[5:6], v[7:8], v[5:6]
	v_fma_f64 v[7:8], v[7:8], v[3:4], v[17:18]
	v_fma_f64 v[5:6], v[3:4], v[9:10], -v[5:6]
	v_mul_f64 v[3:4], v[7:8], s[2:3]
	v_mul_f64 v[5:6], v[5:6], s[2:3]
	v_mov_b32_e32 v8, s5
	v_add_co_u32_e32 v7, vcc, s4, v15
	v_addc_co_u32_e32 v8, vcc, v16, v8, vcc
	v_add_co_u32_e32 v15, vcc, s4, v7
	global_store_dwordx4 v[7:8], v[3:6], off
	global_load_dwordx4 v[3:6], v255, s[6:7] offset:1760
	s_waitcnt vmcnt(0) lgkmcnt(0)
	v_mul_f64 v[9:10], v[13:14], v[5:6]
	v_mul_f64 v[5:6], v[11:12], v[5:6]
	v_fma_f64 v[9:10], v[11:12], v[3:4], v[9:10]
	v_fma_f64 v[5:6], v[3:4], v[13:14], -v[5:6]
	v_mul_f64 v[3:4], v[9:10], s[2:3]
	v_mul_f64 v[5:6], v[5:6], s[2:3]
	v_mov_b32_e32 v9, s5
	v_addc_co_u32_e32 v16, vcc, v8, v9, vcc
	global_store_dwordx4 v[15:16], v[3:6], off
	global_load_dwordx4 v[3:6], v255, s[6:7] offset:1920
	ds_read_b128 v[7:10], v0 offset:1920
	ds_read_b128 v[11:14], v0 offset:2080
	s_waitcnt vmcnt(0) lgkmcnt(1)
	v_mul_f64 v[17:18], v[9:10], v[5:6]
	v_mul_f64 v[5:6], v[7:8], v[5:6]
	v_fma_f64 v[7:8], v[7:8], v[3:4], v[17:18]
	v_fma_f64 v[5:6], v[3:4], v[9:10], -v[5:6]
	v_mul_f64 v[3:4], v[7:8], s[2:3]
	v_mul_f64 v[5:6], v[5:6], s[2:3]
	v_mov_b32_e32 v8, s5
	v_add_co_u32_e32 v7, vcc, s4, v15
	v_addc_co_u32_e32 v8, vcc, v16, v8, vcc
	v_add_co_u32_e32 v15, vcc, s4, v7
	global_store_dwordx4 v[7:8], v[3:6], off
	global_load_dwordx4 v[3:6], v255, s[6:7] offset:2080
	s_waitcnt vmcnt(0) lgkmcnt(0)
	v_mul_f64 v[9:10], v[13:14], v[5:6]
	v_mul_f64 v[5:6], v[11:12], v[5:6]
	v_fma_f64 v[9:10], v[11:12], v[3:4], v[9:10]
	v_fma_f64 v[5:6], v[3:4], v[13:14], -v[5:6]
	v_mul_f64 v[3:4], v[9:10], s[2:3]
	v_mul_f64 v[5:6], v[5:6], s[2:3]
	v_mov_b32_e32 v9, s5
	v_addc_co_u32_e32 v16, vcc, v8, v9, vcc
	global_store_dwordx4 v[15:16], v[3:6], off
	global_load_dwordx4 v[3:6], v255, s[6:7] offset:2240
	ds_read_b128 v[7:10], v0 offset:2240
	ds_read_b128 v[11:14], v0 offset:2400
	s_waitcnt vmcnt(0) lgkmcnt(1)
	v_mul_f64 v[17:18], v[9:10], v[5:6]
	v_mul_f64 v[5:6], v[7:8], v[5:6]
	v_fma_f64 v[7:8], v[7:8], v[3:4], v[17:18]
	v_fma_f64 v[5:6], v[3:4], v[9:10], -v[5:6]
	v_mul_f64 v[3:4], v[7:8], s[2:3]
	v_mul_f64 v[5:6], v[5:6], s[2:3]
	v_mov_b32_e32 v8, s5
	v_add_co_u32_e32 v7, vcc, s4, v15
	v_addc_co_u32_e32 v8, vcc, v16, v8, vcc
	global_store_dwordx4 v[7:8], v[3:6], off
	global_load_dwordx4 v[3:6], v255, s[6:7] offset:2400
	v_add_co_u32_e32 v7, vcc, s4, v7
	s_waitcnt vmcnt(0) lgkmcnt(0)
	v_mul_f64 v[9:10], v[13:14], v[5:6]
	v_mul_f64 v[5:6], v[11:12], v[5:6]
	v_fma_f64 v[9:10], v[11:12], v[3:4], v[9:10]
	v_fma_f64 v[5:6], v[3:4], v[13:14], -v[5:6]
	v_or_b32_e32 v13, 0xa0, v163
	v_mul_f64 v[3:4], v[9:10], s[2:3]
	v_mul_f64 v[5:6], v[5:6], s[2:3]
	v_mov_b32_e32 v9, s5
	v_addc_co_u32_e32 v8, vcc, v8, v9, vcc
	global_store_dwordx4 v[7:8], v[3:6], off
	global_load_dwordx4 v[3:6], v255, s[6:7] offset:2560
	ds_read_b128 v[7:10], v0 offset:2560
	s_waitcnt vmcnt(0) lgkmcnt(0)
	v_mul_f64 v[11:12], v[9:10], v[5:6]
	v_mul_f64 v[5:6], v[7:8], v[5:6]
	v_fma_f64 v[7:8], v[7:8], v[3:4], v[11:12]
	v_fma_f64 v[5:6], v[3:4], v[9:10], -v[5:6]
	v_mad_u64_u32 v[9:10], s[4:5], s0, v13, 0
	v_mov_b32_e32 v0, v10
	v_mad_u64_u32 v[10:11], s[0:1], s1, v13, v[0:1]
	v_mul_f64 v[3:4], v[7:8], s[2:3]
	v_mul_f64 v[5:6], v[5:6], s[2:3]
	v_lshlrev_b64 v[7:8], 4, v[9:10]
	v_add_co_u32_e32 v0, vcc, v1, v7
	v_addc_co_u32_e32 v1, vcc, v2, v8, vcc
	global_store_dwordx4 v[0:1], v[3:6], off
.LBB0_15:
	s_endpgm
	.section	.rodata,"a",@progbits
	.p2align	6, 0x0
	.amdhsa_kernel bluestein_single_fwd_len170_dim1_dp_op_CI_CI
		.amdhsa_group_segment_fixed_size 19040
		.amdhsa_private_segment_fixed_size 624
		.amdhsa_kernarg_size 104
		.amdhsa_user_sgpr_count 6
		.amdhsa_user_sgpr_private_segment_buffer 1
		.amdhsa_user_sgpr_dispatch_ptr 0
		.amdhsa_user_sgpr_queue_ptr 0
		.amdhsa_user_sgpr_kernarg_segment_ptr 1
		.amdhsa_user_sgpr_dispatch_id 0
		.amdhsa_user_sgpr_flat_scratch_init 0
		.amdhsa_user_sgpr_private_segment_size 0
		.amdhsa_uses_dynamic_stack 0
		.amdhsa_system_sgpr_private_segment_wavefront_offset 1
		.amdhsa_system_sgpr_workgroup_id_x 1
		.amdhsa_system_sgpr_workgroup_id_y 0
		.amdhsa_system_sgpr_workgroup_id_z 0
		.amdhsa_system_sgpr_workgroup_info 0
		.amdhsa_system_vgpr_workitem_id 0
		.amdhsa_next_free_vgpr 256
		.amdhsa_next_free_sgpr 68
		.amdhsa_reserve_vcc 1
		.amdhsa_reserve_flat_scratch 0
		.amdhsa_float_round_mode_32 0
		.amdhsa_float_round_mode_16_64 0
		.amdhsa_float_denorm_mode_32 3
		.amdhsa_float_denorm_mode_16_64 3
		.amdhsa_dx10_clamp 1
		.amdhsa_ieee_mode 1
		.amdhsa_fp16_overflow 0
		.amdhsa_exception_fp_ieee_invalid_op 0
		.amdhsa_exception_fp_denorm_src 0
		.amdhsa_exception_fp_ieee_div_zero 0
		.amdhsa_exception_fp_ieee_overflow 0
		.amdhsa_exception_fp_ieee_underflow 0
		.amdhsa_exception_fp_ieee_inexact 0
		.amdhsa_exception_int_div_zero 0
	.end_amdhsa_kernel
	.text
.Lfunc_end0:
	.size	bluestein_single_fwd_len170_dim1_dp_op_CI_CI, .Lfunc_end0-bluestein_single_fwd_len170_dim1_dp_op_CI_CI
                                        ; -- End function
	.section	.AMDGPU.csdata,"",@progbits
; Kernel info:
; codeLenInByte = 25516
; NumSgprs: 72
; NumVgprs: 256
; ScratchSize: 624
; MemoryBound: 0
; FloatMode: 240
; IeeeMode: 1
; LDSByteSize: 19040 bytes/workgroup (compile time only)
; SGPRBlocks: 8
; VGPRBlocks: 63
; NumSGPRsForWavesPerEU: 72
; NumVGPRsForWavesPerEU: 256
; Occupancy: 1
; WaveLimiterHint : 1
; COMPUTE_PGM_RSRC2:SCRATCH_EN: 1
; COMPUTE_PGM_RSRC2:USER_SGPR: 6
; COMPUTE_PGM_RSRC2:TRAP_HANDLER: 0
; COMPUTE_PGM_RSRC2:TGID_X_EN: 1
; COMPUTE_PGM_RSRC2:TGID_Y_EN: 0
; COMPUTE_PGM_RSRC2:TGID_Z_EN: 0
; COMPUTE_PGM_RSRC2:TIDIG_COMP_CNT: 0
	.type	__hip_cuid_a5150a2b9bf2a277,@object ; @__hip_cuid_a5150a2b9bf2a277
	.section	.bss,"aw",@nobits
	.globl	__hip_cuid_a5150a2b9bf2a277
__hip_cuid_a5150a2b9bf2a277:
	.byte	0                               ; 0x0
	.size	__hip_cuid_a5150a2b9bf2a277, 1

	.ident	"AMD clang version 19.0.0git (https://github.com/RadeonOpenCompute/llvm-project roc-6.4.0 25133 c7fe45cf4b819c5991fe208aaa96edf142730f1d)"
	.section	".note.GNU-stack","",@progbits
	.addrsig
	.addrsig_sym __hip_cuid_a5150a2b9bf2a277
	.amdgpu_metadata
---
amdhsa.kernels:
  - .args:
      - .actual_access:  read_only
        .address_space:  global
        .offset:         0
        .size:           8
        .value_kind:     global_buffer
      - .actual_access:  read_only
        .address_space:  global
        .offset:         8
        .size:           8
        .value_kind:     global_buffer
      - .actual_access:  read_only
        .address_space:  global
        .offset:         16
        .size:           8
        .value_kind:     global_buffer
      - .actual_access:  read_only
        .address_space:  global
        .offset:         24
        .size:           8
        .value_kind:     global_buffer
      - .actual_access:  read_only
        .address_space:  global
        .offset:         32
        .size:           8
        .value_kind:     global_buffer
      - .offset:         40
        .size:           8
        .value_kind:     by_value
      - .address_space:  global
        .offset:         48
        .size:           8
        .value_kind:     global_buffer
      - .address_space:  global
        .offset:         56
        .size:           8
        .value_kind:     global_buffer
      - .address_space:  global
        .offset:         64
        .size:           8
        .value_kind:     global_buffer
      - .address_space:  global
        .offset:         72
        .size:           8
        .value_kind:     global_buffer
      - .offset:         80
        .size:           4
        .value_kind:     by_value
      - .address_space:  global
        .offset:         88
        .size:           8
        .value_kind:     global_buffer
      - .address_space:  global
        .offset:         96
        .size:           8
        .value_kind:     global_buffer
    .group_segment_fixed_size: 19040
    .kernarg_segment_align: 8
    .kernarg_segment_size: 104
    .language:       OpenCL C
    .language_version:
      - 2
      - 0
    .max_flat_workgroup_size: 119
    .name:           bluestein_single_fwd_len170_dim1_dp_op_CI_CI
    .private_segment_fixed_size: 624
    .sgpr_count:     72
    .sgpr_spill_count: 0
    .symbol:         bluestein_single_fwd_len170_dim1_dp_op_CI_CI.kd
    .uniform_work_group_size: 1
    .uses_dynamic_stack: false
    .vgpr_count:     256
    .vgpr_spill_count: 188
    .wavefront_size: 64
amdhsa.target:   amdgcn-amd-amdhsa--gfx906
amdhsa.version:
  - 1
  - 2
...

	.end_amdgpu_metadata
